;; amdgpu-corpus repo=ROCm/rocFFT kind=compiled arch=gfx1201 opt=O3
	.text
	.amdgcn_target "amdgcn-amd-amdhsa--gfx1201"
	.amdhsa_code_object_version 6
	.protected	bluestein_single_fwd_len2880_dim1_sp_op_CI_CI ; -- Begin function bluestein_single_fwd_len2880_dim1_sp_op_CI_CI
	.globl	bluestein_single_fwd_len2880_dim1_sp_op_CI_CI
	.p2align	8
	.type	bluestein_single_fwd_len2880_dim1_sp_op_CI_CI,@function
bluestein_single_fwd_len2880_dim1_sp_op_CI_CI: ; @bluestein_single_fwd_len2880_dim1_sp_op_CI_CI
; %bb.0:
	s_load_b128 s[12:15], s[0:1], 0x28
	v_mul_u32_u24_e32 v1, 0x2ab, v0
	s_mov_b32 s2, exec_lo
	v_mov_b32_e32 v2, 0
	s_delay_alu instid0(VALU_DEP_2) | instskip(NEXT) | instid1(VALU_DEP_1)
	v_lshrrev_b32_e32 v3, 16, v1
	v_add_nc_u32_e32 v1, ttmp9, v3
	s_wait_kmcnt 0x0
	s_delay_alu instid0(VALU_DEP_1)
	v_cmpx_gt_u64_e64 s[12:13], v[1:2]
	s_cbranch_execz .LBB0_2
; %bb.1:
	s_clause 0x2
	s_load_b128 s[4:7], s[0:1], 0x0
	s_load_b128 s[8:11], s[0:1], 0x18
	s_load_b64 s[12:13], s[0:1], 0x38
	v_mul_lo_u16 v2, 0x60, v3
	s_delay_alu instid0(VALU_DEP_1)
	v_sub_nc_u16 v140, v0, v2
	s_wait_kmcnt 0x0
	s_load_b128 s[0:3], s[10:11], 0x0
	s_load_b128 s[8:11], s[8:9], 0x0
	s_wait_kmcnt 0x0
	v_mad_co_u64_u32 v[4:5], null, s2, v1, 0
	s_mul_i32 s16, s9, 0xffffb200
	s_delay_alu instid0(SALU_CYCLE_1) | instskip(NEXT) | instid1(VALU_DEP_1)
	s_sub_co_i32 s16, s16, s8
	v_mov_b32_e32 v0, v5
	s_delay_alu instid0(VALU_DEP_1) | instskip(SKIP_2) | instid1(VALU_DEP_2)
	v_mad_co_u64_u32 v[2:3], null, s3, v1, v[0:1]
	v_and_b32_e32 v6, 0xffff, v140
	s_add_nc_u64 s[2:3], s[4:5], 0x5a00
	v_mov_b32_e32 v5, v2
	v_mad_co_u64_u32 v[2:3], null, s10, v1, 0
	s_delay_alu instid0(VALU_DEP_3) | instskip(SKIP_3) | instid1(VALU_DEP_3)
	v_mov_b32_e32 v28, v6
	v_add_co_u32 v144, s10, 0x120, v6
	s_wait_alu 0xf1ff
	v_add_co_ci_u32_e64 v145, null, 0, 0, s10
	v_dual_mov_b32 v0, v3 :: v_dual_add_nc_u32 v143, 0x360, v28
	s_delay_alu instid0(VALU_DEP_3) | instskip(SKIP_2) | instid1(VALU_DEP_4)
	v_and_b32_e32 v116, 0xffff, v144
	v_lshlrev_b32_e32 v24, 3, v6
	v_add_nc_u32_e32 v147, 0x3c0, v28
	v_mad_co_u64_u32 v[0:1], null, s11, v1, v[0:1]
	global_load_b64 v[10:11], v24, s[4:5]
	scratch_store_b64 off, v[4:5], off offset:172 ; 8-byte Folded Spill
	s_mul_u64 s[10:11], s[8:9], 0x900
	v_add_nc_u32_e32 v234, 0x800, v24
	v_add_nc_u32_e32 v210, 0x1400, v24
	v_dual_mov_b32 v3, v0 :: v_dual_add_nc_u32 v236, 0x4000, v24
	v_mad_co_u64_u32 v[0:1], null, s8, v6, 0
	v_add_nc_u32_e32 v244, 0x4800, v24
	v_add_nc_u32_e32 v245, 0x400, v24
	;; [unrolled: 1-line block ×3, first 2 shown]
	s_delay_alu instid0(VALU_DEP_4) | instskip(SKIP_1) | instid1(VALU_DEP_2)
	v_mad_co_u64_u32 v[4:5], null, s9, v6, v[1:2]
	v_lshlrev_b64_e32 v[2:3], 3, v[2:3]
	v_mov_b32_e32 v1, v4
	s_delay_alu instid0(VALU_DEP_2) | instskip(NEXT) | instid1(VALU_DEP_3)
	v_add_co_u32 v8, vcc_lo, s14, v2
	v_add_co_ci_u32_e32 v9, vcc_lo, s15, v3, vcc_lo
	s_delay_alu instid0(VALU_DEP_3) | instskip(SKIP_1) | instid1(VALU_DEP_1)
	v_lshlrev_b64_e32 v[0:1], 3, v[0:1]
	s_mul_u64 s[14:15], s[8:9], 0x1200
	v_add_co_u32 v0, vcc_lo, v8, v0
	s_wait_alu 0xfffd
	s_delay_alu instid0(VALU_DEP_2)
	v_add_co_ci_u32_e32 v1, vcc_lo, v9, v1, vcc_lo
	global_load_b64 v[2:3], v[0:1], off
	s_wait_alu 0xfffe
	v_add_co_u32 v0, vcc_lo, v0, s10
	s_wait_alu 0xfffd
	v_add_co_ci_u32_e32 v1, vcc_lo, s11, v1, vcc_lo
	s_wait_loadcnt 0x1
	scratch_store_b64 off, v[10:11], off offset:204 ; 8-byte Folded Spill
	s_wait_loadcnt 0x0
	v_mul_f32_e32 v4, v3, v11
	s_delay_alu instid0(VALU_DEP_1) | instskip(SKIP_1) | instid1(VALU_DEP_1)
	v_fmac_f32_e32 v4, v2, v10
	v_mul_f32_e32 v2, v2, v11
	v_fma_f32 v5, v3, v10, -v2
	global_load_b64 v[2:3], v[0:1], off
	global_load_b64 v[10:11], v24, s[4:5] offset:2304
	v_add_co_u32 v0, vcc_lo, v0, s10
	s_wait_alu 0xfffd
	v_add_co_ci_u32_e32 v1, vcc_lo, s11, v1, vcc_lo
	s_wait_loadcnt 0x0
	v_mul_f32_e32 v6, v3, v11
	scratch_store_b64 off, v[10:11], off offset:196 ; 8-byte Folded Spill
	v_fmac_f32_e32 v6, v2, v10
	v_mul_f32_e32 v2, v2, v11
	s_delay_alu instid0(VALU_DEP_1)
	v_fma_f32 v7, v3, v10, -v2
	ds_store_b64 v24, v[6:7] offset:2304
	global_load_b64 v[2:3], v[0:1], off
	global_load_b64 v[10:11], v24, s[4:5] offset:4608
	v_add_co_u32 v0, vcc_lo, v0, s10
	s_wait_alu 0xfffd
	v_add_co_ci_u32_e32 v1, vcc_lo, s11, v1, vcc_lo
	s_wait_loadcnt 0x0
	v_mul_f32_e32 v6, v3, v11
	scratch_store_b64 off, v[10:11], off offset:188 ; 8-byte Folded Spill
	v_fmac_f32_e32 v6, v2, v10
	v_mul_f32_e32 v2, v2, v11
	s_delay_alu instid0(VALU_DEP_1)
	v_fma_f32 v7, v3, v10, -v2
	ds_store_b64 v24, v[6:7] offset:4608
	global_load_b64 v[2:3], v[0:1], off
	global_load_b64 v[10:11], v24, s[4:5] offset:6912
	s_wait_loadcnt 0x0
	v_mul_f32_e32 v6, v3, v11
	scratch_store_b64 off, v[10:11], off offset:180 ; 8-byte Folded Spill
	v_fmac_f32_e32 v6, v2, v10
	v_mul_f32_e32 v2, v2, v11
	s_delay_alu instid0(VALU_DEP_1) | instskip(SKIP_4) | instid1(VALU_DEP_2)
	v_fma_f32 v7, v3, v10, -v2
	v_or_b32_e32 v10, 0x480, v28
	ds_store_b64 v24, v[6:7] offset:6912
	v_mad_co_u64_u32 v[2:3], null, s8, v10, 0
	v_mov_b32_e32 v198, v10
	v_mad_co_u64_u32 v[6:7], null, s9, v10, v[3:4]
	s_delay_alu instid0(VALU_DEP_1) | instskip(NEXT) | instid1(VALU_DEP_1)
	v_mov_b32_e32 v3, v6
	v_lshlrev_b64_e32 v[2:3], 3, v[2:3]
	s_delay_alu instid0(VALU_DEP_1) | instskip(SKIP_1) | instid1(VALU_DEP_2)
	v_add_co_u32 v2, vcc_lo, v8, v2
	s_wait_alu 0xfffd
	v_add_co_ci_u32_e32 v3, vcc_lo, v9, v3, vcc_lo
	global_load_b64 v[2:3], v[2:3], off
	global_load_b64 v[10:11], v24, s[4:5] offset:9216
	v_add_co_u32 v0, vcc_lo, v0, s14
	s_wait_alu 0xfffd
	v_add_co_ci_u32_e32 v1, vcc_lo, s15, v1, vcc_lo
	s_wait_loadcnt 0x0
	v_mul_f32_e32 v6, v3, v11
	scratch_store_b64 off, v[10:11], off offset:236 ; 8-byte Folded Spill
	v_fmac_f32_e32 v6, v2, v10
	v_mul_f32_e32 v2, v2, v11
	s_delay_alu instid0(VALU_DEP_1)
	v_fma_f32 v7, v3, v10, -v2
	ds_store_b64 v24, v[6:7] offset:9216
	global_load_b64 v[2:3], v[0:1], off
	global_load_b64 v[10:11], v24, s[4:5] offset:11520
	v_add_co_u32 v0, vcc_lo, v0, s10
	s_wait_alu 0xfffd
	v_add_co_ci_u32_e32 v1, vcc_lo, s11, v1, vcc_lo
	s_wait_loadcnt 0x0
	v_mul_f32_e32 v6, v3, v11
	scratch_store_b64 off, v[10:11], off offset:228 ; 8-byte Folded Spill
	v_fmac_f32_e32 v6, v2, v10
	v_mul_f32_e32 v2, v2, v11
	s_delay_alu instid0(VALU_DEP_1)
	v_fma_f32 v7, v3, v10, -v2
	ds_store_b64 v24, v[6:7] offset:11520
	;; [unrolled: 13-line block ×3, first 2 shown]
	global_load_b64 v[2:3], v[0:1], off
	global_load_b64 v[10:11], v24, s[4:5] offset:16128
	s_wait_loadcnt 0x0
	v_mul_f32_e32 v6, v3, v11
	s_delay_alu instid0(VALU_DEP_1) | instskip(SKIP_1) | instid1(VALU_DEP_1)
	v_fmac_f32_e32 v6, v2, v10
	v_mul_f32_e32 v2, v2, v11
	v_fma_f32 v7, v3, v10, -v2
	ds_store_b64 v24, v[6:7] offset:16128
	v_or_b32_e32 v6, 0x900, v28
	s_clause 0x1
	scratch_store_b64 off, v[10:11], off offset:212
	scratch_store_b32 off, v6, off offset:244
	v_mad_co_u64_u32 v[2:3], null, s8, v6, 0
	s_delay_alu instid0(VALU_DEP_1) | instskip(NEXT) | instid1(VALU_DEP_1)
	v_mad_co_u64_u32 v[6:7], null, s9, v6, v[3:4]
	v_mov_b32_e32 v3, v6
	v_mov_b32_e32 v153, v28
	v_add_co_u32 v112, null, 0x60, v28
	v_add_co_u32 v113, null, 0xc0, v28
	s_delay_alu instid0(VALU_DEP_4)
	v_lshlrev_b64_e32 v[2:3], 3, v[2:3]
	v_add_co_u32 v149, null, 0x420, v28
	v_add_nc_u32_e32 v148, 0x540, v28
	v_and_b32_e32 v114, 0xff, v112
	v_and_b32_e32 v115, 0xffff, v113
	v_add_co_u32 v2, vcc_lo, v8, v2
	s_wait_alu 0xfffd
	v_add_co_ci_u32_e32 v3, vcc_lo, v9, v3, vcc_lo
	global_load_b64 v[2:3], v[2:3], off
	global_load_b64 v[10:11], v24, s[4:5] offset:18432
	v_add_co_u32 v0, vcc_lo, v0, s14
	s_wait_alu 0xfffd
	v_add_co_ci_u32_e32 v1, vcc_lo, s15, v1, vcc_lo
	s_wait_loadcnt 0x0
	v_mul_f32_e32 v6, v3, v11
	scratch_store_b64 off, v[10:11], off offset:248 ; 8-byte Folded Spill
	v_fmac_f32_e32 v6, v2, v10
	v_mul_f32_e32 v2, v2, v11
	s_delay_alu instid0(VALU_DEP_1) | instskip(SKIP_4) | instid1(VALU_DEP_1)
	v_fma_f32 v7, v3, v10, -v2
	ds_store_b64 v24, v[6:7] offset:18432
	global_load_b64 v[2:3], v[0:1], off
	global_load_b64 v[10:11], v24, s[4:5] offset:20736
	v_mad_co_u64_u32 v[0:1], null, 0xffffb200, s8, v[0:1]
	v_add_nc_u32_e32 v1, s16, v1
	v_add_co_u32 v141, s16, 0x2a0, v28
	s_wait_alu 0xf1ff
	v_add_co_ci_u32_e64 v142, null, 0, 0, s16
	s_mul_i32 s16, s9, 0xffffbb00
	s_wait_alu 0xfffe
	s_sub_co_i32 s16, s16, s8
	s_wait_loadcnt 0x0
	v_mul_f32_e32 v6, v3, v11
	scratch_store_b64 off, v[10:11], off offset:256 ; 8-byte Folded Spill
	v_fmac_f32_e32 v6, v2, v10
	v_mul_f32_e32 v2, v2, v11
	s_delay_alu instid0(VALU_DEP_1)
	v_fma_f32 v7, v3, v10, -v2
	ds_store_b64 v24, v[6:7] offset:20736
	global_load_b64 v[2:3], v[0:1], off
	global_load_b64 v[10:11], v24, s[4:5] offset:768
	s_wait_loadcnt 0x0
	v_mul_f32_e32 v6, v3, v11
	scratch_store_b64 off, v[10:11], off offset:164 ; 8-byte Folded Spill
	v_fmac_f32_e32 v6, v2, v10
	v_mul_f32_e32 v2, v2, v11
	s_delay_alu instid0(VALU_DEP_1) | instskip(SKIP_2) | instid1(VALU_DEP_1)
	v_fma_f32 v7, v3, v10, -v2
	ds_store_2addr_b64 v24, v[4:5], v[6:7] offset1:96
	v_or_b32_e32 v5, 0x180, v28
	v_mad_co_u64_u32 v[2:3], null, s8, v5, 0
	v_mov_b32_e32 v154, v5
	s_delay_alu instid0(VALU_DEP_2) | instskip(NEXT) | instid1(VALU_DEP_1)
	v_mad_co_u64_u32 v[3:4], null, s9, v5, v[3:4]
	v_lshlrev_b64_e32 v[2:3], 3, v[2:3]
	s_delay_alu instid0(VALU_DEP_1) | instskip(SKIP_1) | instid1(VALU_DEP_2)
	v_add_co_u32 v2, vcc_lo, v8, v2
	s_wait_alu 0xfffd
	v_add_co_ci_u32_e32 v3, vcc_lo, v9, v3, vcc_lo
	global_load_b64 v[2:3], v[2:3], off
	global_load_b64 v[4:5], v24, s[4:5] offset:3072
	v_add_co_u32 v0, vcc_lo, v0, s14
	s_wait_alu 0xfffd
	v_add_co_ci_u32_e32 v1, vcc_lo, s15, v1, vcc_lo
	s_wait_loadcnt 0x0
	v_mul_f32_e32 v10, v3, v5
	scratch_store_b64 off, v[4:5], off offset:156 ; 8-byte Folded Spill
	v_fmac_f32_e32 v10, v2, v4
	v_mul_f32_e32 v2, v2, v5
	s_delay_alu instid0(VALU_DEP_1)
	v_fma_f32 v11, v3, v4, -v2
	global_load_b64 v[2:3], v[0:1], off
	global_load_b64 v[4:5], v24, s[4:5] offset:5376
	v_add_co_u32 v0, vcc_lo, v0, s10
	s_wait_alu 0xfffd
	v_add_co_ci_u32_e32 v1, vcc_lo, s11, v1, vcc_lo
	s_wait_loadcnt 0x0
	v_mul_f32_e32 v12, v3, v5
	scratch_store_b64 off, v[4:5], off offset:148 ; 8-byte Folded Spill
	v_fmac_f32_e32 v12, v2, v4
	v_mul_f32_e32 v2, v2, v5
	s_delay_alu instid0(VALU_DEP_1)
	v_fma_f32 v13, v3, v4, -v2
	;; [unrolled: 12-line block ×3, first 2 shown]
	global_load_b64 v[2:3], v[0:1], off
	global_load_b64 v[4:5], v24, s[4:5] offset:9984
	s_wait_loadcnt 0x0
	v_mul_f32_e32 v16, v3, v5
	scratch_store_b64 off, v[4:5], off offset:124 ; 8-byte Folded Spill
	v_fmac_f32_e32 v16, v2, v4
	v_mul_f32_e32 v2, v2, v5
	s_delay_alu instid0(VALU_DEP_1) | instskip(SKIP_1) | instid1(VALU_DEP_1)
	v_fma_f32 v17, v3, v4, -v2
	v_or_b32_e32 v4, 0x600, v28
	v_mad_co_u64_u32 v[2:3], null, s8, v4, 0
	scratch_store_b32 off, v4, off offset:112 ; 4-byte Folded Spill
	v_mad_co_u64_u32 v[3:4], null, s9, v4, v[3:4]
	s_delay_alu instid0(VALU_DEP_1) | instskip(NEXT) | instid1(VALU_DEP_1)
	v_lshlrev_b64_e32 v[2:3], 3, v[2:3]
	v_add_co_u32 v2, vcc_lo, v8, v2
	s_wait_alu 0xfffd
	s_delay_alu instid0(VALU_DEP_2)
	v_add_co_ci_u32_e32 v3, vcc_lo, v9, v3, vcc_lo
	global_load_b64 v[2:3], v[2:3], off
	global_load_b64 v[4:5], v24, s[4:5] offset:12288
	v_add_co_u32 v0, vcc_lo, v0, s14
	s_wait_alu 0xfffd
	v_add_co_ci_u32_e32 v1, vcc_lo, s15, v1, vcc_lo
	s_wait_loadcnt 0x0
	v_mul_f32_e32 v18, v3, v5
	scratch_store_b64 off, v[4:5], off offset:116 ; 8-byte Folded Spill
	v_fmac_f32_e32 v18, v2, v4
	v_mul_f32_e32 v2, v2, v5
	s_delay_alu instid0(VALU_DEP_1)
	v_fma_f32 v19, v3, v4, -v2
	global_load_b64 v[2:3], v[0:1], off
	global_load_b64 v[4:5], v24, s[4:5] offset:14592
	v_add_co_u32 v0, vcc_lo, v0, s10
	s_wait_alu 0xfffd
	v_add_co_ci_u32_e32 v1, vcc_lo, s11, v1, vcc_lo
	s_wait_loadcnt 0x0
	v_mul_f32_e32 v6, v3, v5
	scratch_store_b64 off, v[4:5], off offset:96 ; 8-byte Folded Spill
	v_fmac_f32_e32 v6, v2, v4
	v_mul_f32_e32 v2, v2, v5
	s_delay_alu instid0(VALU_DEP_1)
	v_fma_f32 v7, v3, v4, -v2
	global_load_b64 v[2:3], v[0:1], off
	global_load_b64 v[20:21], v24, s[4:5] offset:16896
	s_wait_loadcnt 0x0
	v_mul_f32_e32 v4, v3, v21
	scratch_store_b64 off, v[20:21], off offset:88 ; 8-byte Folded Spill
	v_fmac_f32_e32 v4, v2, v20
	v_mul_f32_e32 v2, v2, v21
	s_delay_alu instid0(VALU_DEP_1)
	v_fma_f32 v5, v3, v20, -v2
	v_add_co_u32 v20, vcc_lo, v0, s10
	s_wait_alu 0xfffd
	v_add_co_ci_u32_e32 v21, vcc_lo, s11, v1, vcc_lo
	global_load_b64 v[0:1], v[20:21], off
	global_load_b64 v[22:23], v24, s[4:5] offset:19200
	v_mad_co_u64_u32 v[20:21], null, 0xffffbb00, s8, v[20:21]
	s_wait_loadcnt 0x0
	s_wait_alu 0xfffe
	s_delay_alu instid0(VALU_DEP_1) | instskip(SKIP_3) | instid1(VALU_DEP_1)
	v_dual_mul_f32 v2, v1, v23 :: v_dual_add_nc_u32 v21, s16, v21
	scratch_store_b64 off, v[22:23], off offset:28 ; 8-byte Folded Spill
	v_fmac_f32_e32 v2, v0, v22
	v_mul_f32_e32 v0, v0, v23
	v_fma_f32 v3, v1, v22, -v0
	v_or_b32_e32 v22, 0xa80, v28
	s_delay_alu instid0(VALU_DEP_1) | instskip(SKIP_2) | instid1(VALU_DEP_1)
	v_mad_co_u64_u32 v[0:1], null, s8, v22, 0
	scratch_store_b32 off, v22, off offset:16 ; 4-byte Folded Spill
	v_mad_co_u64_u32 v[22:23], null, s9, v22, v[1:2]
	v_mov_b32_e32 v1, v22
	s_delay_alu instid0(VALU_DEP_1) | instskip(NEXT) | instid1(VALU_DEP_1)
	v_lshlrev_b64_e32 v[0:1], 3, v[0:1]
	v_add_co_u32 v0, vcc_lo, v8, v0
	s_wait_alu 0xfffd
	s_delay_alu instid0(VALU_DEP_2)
	v_add_co_ci_u32_e32 v1, vcc_lo, v9, v1, vcc_lo
	global_load_b64 v[22:23], v[0:1], off
	global_load_b64 v[25:26], v24, s[4:5] offset:21504
	s_wait_loadcnt 0x0
	v_mul_f32_e32 v0, v23, v26
	v_mul_f32_e32 v1, v22, v26
	scratch_store_b64 off, v[25:26], off offset:20 ; 8-byte Folded Spill
	v_fmac_f32_e32 v0, v22, v25
	v_fma_f32 v1, v23, v25, -v1
	global_load_b64 v[22:23], v[20:21], off
	global_load_b64 v[26:27], v24, s[4:5] offset:1536
	v_add_co_u32 v20, vcc_lo, v20, s10
	s_wait_alu 0xfffd
	v_add_co_ci_u32_e32 v21, vcc_lo, s11, v21, vcc_lo
	s_wait_loadcnt 0x0
	v_mul_f32_e32 v25, v23, v27
	scratch_store_b64 off, v[26:27], off offset:8 ; 8-byte Folded Spill
	v_fmac_f32_e32 v25, v22, v26
	v_mul_f32_e32 v22, v22, v27
	s_delay_alu instid0(VALU_DEP_1)
	v_fma_f32 v26, v23, v26, -v22
	ds_store_b64 v24, v[25:26] offset:1536
	global_load_b64 v[22:23], v[20:21], off
	global_load_b64 v[26:27], v24, s[4:5] offset:3840
	s_wait_loadcnt 0x0
	v_mul_f32_e32 v25, v23, v27
	scratch_store_b64 off, v[26:27], off    ; 8-byte Folded Spill
	v_fmac_f32_e32 v25, v22, v26
	v_mul_f32_e32 v22, v22, v27
	s_delay_alu instid0(VALU_DEP_1) | instskip(SKIP_2) | instid1(VALU_DEP_1)
	v_fma_f32 v26, v23, v26, -v22
	ds_store_2addr_b64 v234, v[10:11], v[25:26] offset0:128 offset1:224
	v_or_b32_e32 v25, 0x300, v28
	v_mad_co_u64_u32 v[10:11], null, s8, v25, 0
	v_mov_b32_e32 v197, v25
	s_delay_alu instid0(VALU_DEP_2) | instskip(NEXT) | instid1(VALU_DEP_1)
	v_mad_co_u64_u32 v[22:23], null, s9, v25, v[11:12]
	v_mov_b32_e32 v11, v22
	s_delay_alu instid0(VALU_DEP_1) | instskip(NEXT) | instid1(VALU_DEP_1)
	v_lshlrev_b64_e32 v[10:11], 3, v[10:11]
	v_add_co_u32 v10, vcc_lo, v8, v10
	s_wait_alu 0xfffd
	s_delay_alu instid0(VALU_DEP_2)
	v_add_co_ci_u32_e32 v11, vcc_lo, v9, v11, vcc_lo
	global_load_b64 v[10:11], v[10:11], off
	global_load_b64 v[25:26], v24, s[4:5] offset:6144
	s_wait_loadcnt 0x0
	v_mul_f32_e32 v22, v11, v26
	scratch_store_b64 off, v[25:26], off offset:80 ; 8-byte Folded Spill
	v_fmac_f32_e32 v22, v10, v25
	v_mul_f32_e32 v10, v10, v26
	s_delay_alu instid0(VALU_DEP_1)
	v_fma_f32 v23, v11, v25, -v10
	v_add_co_u32 v10, vcc_lo, v20, s14
	s_wait_alu 0xfffd
	v_add_co_ci_u32_e32 v11, vcc_lo, s15, v21, vcc_lo
	ds_store_2addr_b64 v210, v[12:13], v[22:23] offset0:32 offset1:128
	global_load_b64 v[12:13], v[10:11], off
	global_load_b64 v[21:22], v24, s[4:5] offset:8448
	v_add_co_u32 v10, vcc_lo, v10, s10
	s_wait_alu 0xfffd
	v_add_co_ci_u32_e32 v11, vcc_lo, s11, v11, vcc_lo
	s_wait_loadcnt 0x0
	v_mul_f32_e32 v20, v13, v22
	scratch_store_b64 off, v[21:22], off offset:68 ; 8-byte Folded Spill
	v_fmac_f32_e32 v20, v12, v21
	v_mul_f32_e32 v12, v12, v22
	s_delay_alu instid0(VALU_DEP_1)
	v_fma_f32 v21, v13, v21, -v12
	v_add_nc_u32_e32 v12, 0x1c00, v24
	ds_store_2addr_b64 v12, v[14:15], v[20:21] offset0:64 offset1:160
	v_mov_b32_e32 v201, v12
	global_load_b64 v[12:13], v[10:11], off
	global_load_b64 v[20:21], v24, s[4:5] offset:10752
	v_add_co_u32 v10, vcc_lo, v10, s10
	s_wait_alu 0xfffd
	v_add_co_ci_u32_e32 v11, vcc_lo, s11, v11, vcc_lo
	s_wait_loadcnt 0x0
	v_mul_f32_e32 v14, v13, v21
	scratch_store_b64 off, v[20:21], off offset:44 ; 8-byte Folded Spill
	v_fmac_f32_e32 v14, v12, v20
	v_mul_f32_e32 v12, v12, v21
	s_delay_alu instid0(VALU_DEP_1)
	v_fma_f32 v15, v13, v20, -v12
	v_add_nc_u32_e32 v12, 0x2400, v24
	ds_store_2addr_b64 v12, v[16:17], v[14:15] offset0:96 offset1:192
	v_mov_b32_e32 v212, v12
	global_load_b64 v[12:13], v[10:11], off
	global_load_b64 v[15:16], v24, s[4:5] offset:13056
	s_wait_loadcnt 0x0
	v_mul_f32_e32 v14, v13, v16
	scratch_store_b64 off, v[15:16], off offset:36 ; 8-byte Folded Spill
	v_fmac_f32_e32 v14, v12, v15
	v_mul_f32_e32 v12, v12, v16
	s_delay_alu instid0(VALU_DEP_1) | instskip(SKIP_4) | instid1(VALU_DEP_2)
	v_fma_f32 v15, v13, v15, -v12
	v_add_nc_u32_e32 v12, 0x3000, v24
	ds_store_2addr_b64 v12, v[18:19], v[14:15] offset1:96
	v_or_b32_e32 v14, 0x780, v153
	v_mov_b32_e32 v235, v12
	v_mad_co_u64_u32 v[12:13], null, s8, v14, 0
	scratch_store_b32 off, v14, off offset:76 ; 4-byte Folded Spill
	v_mad_co_u64_u32 v[13:14], null, s9, v14, v[13:14]
	s_delay_alu instid0(VALU_DEP_1) | instskip(NEXT) | instid1(VALU_DEP_1)
	v_lshlrev_b64_e32 v[12:13], 3, v[12:13]
	v_add_co_u32 v8, vcc_lo, v8, v12
	s_wait_alu 0xfffd
	s_delay_alu instid0(VALU_DEP_2)
	v_add_co_ci_u32_e32 v9, vcc_lo, v9, v13, vcc_lo
	global_load_b64 v[8:9], v[8:9], off
	global_load_b64 v[13:14], v24, s[4:5] offset:15360
	s_wait_loadcnt 0x0
	v_mul_f32_e32 v12, v9, v14
	scratch_store_b64 off, v[13:14], off offset:104 ; 8-byte Folded Spill
	v_fmac_f32_e32 v12, v8, v13
	v_mul_f32_e32 v8, v8, v14
	s_delay_alu instid0(VALU_DEP_1)
	v_fma_f32 v13, v9, v13, -v8
	v_add_nc_u32_e32 v8, 0x3800, v24
	ds_store_2addr_b64 v8, v[6:7], v[12:13] offset0:32 offset1:128
	v_add_co_u32 v6, vcc_lo, v10, s14
	s_wait_alu 0xfffd
	v_add_co_ci_u32_e32 v7, vcc_lo, s15, v11, vcc_lo
	v_mov_b32_e32 v237, v8
	global_load_b64 v[8:9], v[6:7], off
	global_load_b64 v[11:12], v24, s[4:5] offset:17664
	s_wait_loadcnt 0x0
	v_mul_f32_e32 v10, v9, v12
	scratch_store_b64 off, v[11:12], off offset:132 ; 8-byte Folded Spill
	v_fmac_f32_e32 v10, v8, v11
	v_mul_f32_e32 v8, v8, v12
	s_delay_alu instid0(VALU_DEP_1)
	v_fma_f32 v11, v9, v11, -v8
	ds_store_2addr_b64 v236, v[4:5], v[10:11] offset0:64 offset1:160
	v_add_co_u32 v4, vcc_lo, v6, s10
	s_wait_alu 0xfffd
	v_add_co_ci_u32_e32 v5, vcc_lo, s11, v7, vcc_lo
	global_load_b64 v[6:7], v[4:5], off
	global_load_b64 v[9:10], v24, s[4:5] offset:19968
	s_wait_loadcnt 0x0
	v_mul_f32_e32 v8, v7, v10
	scratch_store_b64 off, v[9:10], off offset:52 ; 8-byte Folded Spill
	v_fmac_f32_e32 v8, v6, v9
	v_mul_f32_e32 v6, v6, v10
	s_delay_alu instid0(VALU_DEP_1)
	v_fma_f32 v9, v7, v9, -v6
	ds_store_2addr_b64 v244, v[2:3], v[8:9] offset0:96 offset1:192
	v_add_co_u32 v2, vcc_lo, v4, s10
	s_wait_alu 0xfffd
	v_add_co_ci_u32_e32 v3, vcc_lo, s11, v5, vcc_lo
	global_load_b64 v[2:3], v[2:3], off
	global_load_b64 v[5:6], v24, s[4:5] offset:22272
	v_cmp_gt_u16_e64 vcc_lo, 60, v140
	s_wait_loadcnt 0x0
	v_mul_f32_e32 v4, v3, v6
	scratch_store_b64 off, v[5:6], off offset:60 ; 8-byte Folded Spill
	v_fmac_f32_e32 v4, v2, v5
	v_mul_f32_e32 v2, v2, v6
	s_delay_alu instid0(VALU_DEP_1)
	v_fma_f32 v5, v3, v5, -v2
	v_add_nc_u32_e32 v2, 0x5000, v24
	ds_store_2addr_b64 v2, v[0:1], v[4:5] offset0:128 offset1:224
	v_add_nc_u32_e32 v4, 0x1000, v24
	global_wb scope:SCOPE_SE
	s_wait_storecnt_dscnt 0x0
	s_barrier_signal -1
	s_barrier_wait -1
	global_inv scope:SCOPE_SE
	ds_load_2addr_b64 v[60:63], v24 offset1:96
	ds_load_2addr_b64 v[72:75], v4 offset0:64 offset1:160
	v_dual_mov_b32 v213, v4 :: v_dual_add_nc_u32 v4, 0x2000, v24
	v_mov_b32_e32 v233, v2
	ds_load_2addr_b64 v[0:3], v245 offset0:64 offset1:160
	ds_load_2addr_b64 v[52:55], v199 offset1:96
	ds_load_2addr_b64 v[76:79], v4 offset0:128 offset1:224
	v_dual_mov_b32 v211, v4 :: v_dual_add_nc_u32 v4, 0x2800, v24
	ds_load_2addr_b64 v[56:59], v4 offset0:64 offset1:160
	v_mov_b32_e32 v200, v4
	v_add_nc_u32_e32 v4, 0x3400, v24
	s_wait_dscnt 0x4
	v_add_f32_e32 v25, v60, v72
	ds_load_2addr_b64 v[64:67], v4 offset0:64 offset1:160
	ds_load_2addr_b64 v[44:47], v237 offset0:128 offset1:224
	ds_load_2addr_b64 v[68:71], v244 offset1:96
	v_add_nc_u32_e32 v146, 0x4e0, v28
	v_mov_b32_e32 v214, v4
	v_add_nc_u32_e32 v4, 0x4c00, v24
	s_wait_dscnt 0x4
	v_sub_f32_e32 v30, v72, v76
	v_sub_f32_e32 v32, v76, v72
	;; [unrolled: 1-line block ×3, first 2 shown]
	ds_load_2addr_b64 v[48:51], v4 offset0:64 offset1:160
	v_add_f32_e32 v25, v25, v76
	s_wait_dscnt 0x4
	v_dual_mov_b32 v215, v4 :: v_dual_sub_f32 v38, v54, v58
	s_wait_dscnt 0x1
	v_dual_add_f32 v26, v76, v64 :: v_dual_sub_f32 v27, v73, v69
	v_sub_f32_e32 v29, v77, v65
	v_sub_f32_e32 v31, v68, v64
	;; [unrolled: 1-line block ×3, first 2 shown]
	s_delay_alu instid0(VALU_DEP_4)
	v_fma_f32 v26, -0.5, v26, v60
	v_sub_f32_e32 v35, v69, v65
	v_sub_f32_e32 v36, v65, v69
	v_add_f32_e32 v30, v30, v31
	v_add_f32_e32 v32, v32, v33
	v_fmamk_f32 v28, v27, 0x3f737871, v26
	v_fmac_f32_e32 v26, 0xbf737871, v27
	v_add_f32_e32 v34, v34, v35
	s_wait_dscnt 0x0
	v_sub_f32_e32 v39, v50, v46
	v_dual_add_f32 v25, v25, v64 :: v_dual_fmac_f32 v28, 0x3f167918, v29
	v_fmac_f32_e32 v26, 0xbf167918, v29
	v_sub_f32_e32 v40, v46, v50
	s_delay_alu instid0(VALU_DEP_4) | instskip(NEXT) | instid1(VALU_DEP_4)
	v_add_f32_e32 v38, v38, v39
	v_dual_sub_f32 v41, v51, v47 :: v_dual_fmac_f32 v28, 0x3e9e377a, v30
	s_delay_alu instid0(VALU_DEP_4) | instskip(SKIP_2) | instid1(VALU_DEP_2)
	v_fmac_f32_e32 v26, 0x3e9e377a, v30
	v_add_f32_e32 v30, v72, v68
	v_add_f32_e32 v25, v25, v68
	v_fma_f32 v30, -0.5, v30, v60
	s_delay_alu instid0(VALU_DEP_1) | instskip(SKIP_2) | instid1(VALU_DEP_3)
	v_fmamk_f32 v31, v29, 0xbf737871, v30
	v_fmac_f32_e32 v30, 0x3f737871, v29
	v_add_f32_e32 v29, v77, v65
	v_fmac_f32_e32 v31, 0x3f167918, v27
	s_delay_alu instid0(VALU_DEP_3) | instskip(NEXT) | instid1(VALU_DEP_3)
	v_fmac_f32_e32 v30, 0xbf167918, v27
	v_fma_f32 v60, -0.5, v29, v61
	v_sub_f32_e32 v29, v72, v68
	v_add_f32_e32 v27, v61, v73
	v_fmac_f32_e32 v31, 0x3e9e377a, v32
	v_fmac_f32_e32 v30, 0x3e9e377a, v32
	s_delay_alu instid0(VALU_DEP_4) | instskip(SKIP_2) | instid1(VALU_DEP_3)
	v_dual_sub_f32 v32, v76, v64 :: v_dual_fmamk_f32 v33, v29, 0xbf737871, v60
	v_fmac_f32_e32 v60, 0x3f737871, v29
	v_add_f32_e32 v27, v27, v77
	v_fmac_f32_e32 v33, 0xbf167918, v32
	s_delay_alu instid0(VALU_DEP_2) | instskip(NEXT) | instid1(VALU_DEP_2)
	v_dual_fmac_f32 v60, 0x3f167918, v32 :: v_dual_add_f32 v27, v27, v65
	v_fmac_f32_e32 v33, 0x3e9e377a, v34
	s_delay_alu instid0(VALU_DEP_2) | instskip(SKIP_1) | instid1(VALU_DEP_4)
	v_fmac_f32_e32 v60, 0x3e9e377a, v34
	v_add_f32_e32 v34, v73, v69
	v_add_f32_e32 v27, v27, v69
	s_delay_alu instid0(VALU_DEP_2) | instskip(NEXT) | instid1(VALU_DEP_1)
	v_fma_f32 v61, -0.5, v34, v61
	v_dual_sub_f32 v34, v77, v73 :: v_dual_fmamk_f32 v35, v32, 0x3f737871, v61
	v_fmac_f32_e32 v61, 0xbf737871, v32
	s_delay_alu instid0(VALU_DEP_2) | instskip(SKIP_1) | instid1(VALU_DEP_4)
	v_add_f32_e32 v34, v34, v36
	v_add_f32_e32 v32, v58, v46
	v_dual_sub_f32 v36, v59, v47 :: v_dual_fmac_f32 v35, 0xbf167918, v29
	s_delay_alu instid0(VALU_DEP_4) | instskip(SKIP_1) | instid1(VALU_DEP_4)
	v_fmac_f32_e32 v61, 0x3f167918, v29
	v_add_f32_e32 v29, v2, v54
	v_fma_f32 v32, -0.5, v32, v2
	s_delay_alu instid0(VALU_DEP_4) | instskip(NEXT) | instid1(VALU_DEP_4)
	v_fmac_f32_e32 v35, 0x3e9e377a, v34
	v_dual_fmac_f32 v61, 0x3e9e377a, v34 :: v_dual_sub_f32 v34, v55, v51
	s_delay_alu instid0(VALU_DEP_4) | instskip(NEXT) | instid1(VALU_DEP_2)
	v_add_f32_e32 v29, v29, v58
	v_fmamk_f32 v37, v34, 0x3f737871, v32
	v_fmac_f32_e32 v32, 0xbf737871, v34
	s_delay_alu instid0(VALU_DEP_3) | instskip(NEXT) | instid1(VALU_DEP_3)
	v_add_f32_e32 v29, v29, v46
	v_fmac_f32_e32 v37, 0x3f167918, v36
	s_delay_alu instid0(VALU_DEP_2) | instskip(NEXT) | instid1(VALU_DEP_2)
	v_dual_fmac_f32 v32, 0xbf167918, v36 :: v_dual_add_f32 v29, v29, v50
	v_fmac_f32_e32 v37, 0x3e9e377a, v38
	s_delay_alu instid0(VALU_DEP_2) | instskip(SKIP_1) | instid1(VALU_DEP_4)
	v_fmac_f32_e32 v32, 0x3e9e377a, v38
	v_add_f32_e32 v38, v54, v50
	v_sub_f32_e32 v82, v25, v29
	s_delay_alu instid0(VALU_DEP_2) | instskip(NEXT) | instid1(VALU_DEP_1)
	v_fma_f32 v2, -0.5, v38, v2
	v_dual_sub_f32 v38, v58, v54 :: v_dual_fmamk_f32 v39, v36, 0xbf737871, v2
	v_fmac_f32_e32 v2, 0x3f737871, v36
	s_delay_alu instid0(VALU_DEP_2) | instskip(SKIP_1) | instid1(VALU_DEP_4)
	v_add_f32_e32 v38, v38, v40
	v_sub_f32_e32 v36, v54, v50
	v_dual_sub_f32 v40, v55, v59 :: v_dual_fmac_f32 v39, 0x3f167918, v34
	s_delay_alu instid0(VALU_DEP_4) | instskip(SKIP_2) | instid1(VALU_DEP_4)
	v_fmac_f32_e32 v2, 0xbf167918, v34
	v_add_f32_e32 v34, v3, v55
	v_mul_f32_e32 v54, 0xbf4f1bbd, v32
	v_dual_add_f32 v40, v40, v41 :: v_dual_fmac_f32 v39, 0x3e9e377a, v38
	s_delay_alu instid0(VALU_DEP_4) | instskip(NEXT) | instid1(VALU_DEP_4)
	v_fmac_f32_e32 v2, 0x3e9e377a, v38
	v_add_f32_e32 v34, v34, v59
	v_dual_sub_f32 v38, v58, v46 :: v_dual_sub_f32 v41, v47, v51
	s_delay_alu instid0(VALU_DEP_4) | instskip(NEXT) | instid1(VALU_DEP_3)
	v_mul_f32_e32 v58, 0xbf737871, v39
	v_add_f32_e32 v34, v34, v47
	s_delay_alu instid0(VALU_DEP_1) | instskip(SKIP_1) | instid1(VALU_DEP_2)
	v_add_f32_e32 v64, v34, v51
	v_dual_add_f32 v34, v59, v47 :: v_dual_mul_f32 v47, 0x3f4f1bbd, v37
	v_sub_f32_e32 v83, v27, v64
	s_delay_alu instid0(VALU_DEP_2) | instskip(NEXT) | instid1(VALU_DEP_1)
	v_fma_f32 v34, -0.5, v34, v3
	v_fmamk_f32 v43, v36, 0xbf737871, v34
	v_fmac_f32_e32 v34, 0x3f737871, v36
	s_delay_alu instid0(VALU_DEP_2) | instskip(NEXT) | instid1(VALU_DEP_2)
	v_fmac_f32_e32 v43, 0xbf167918, v38
	v_fmac_f32_e32 v34, 0x3f167918, v38
	s_delay_alu instid0(VALU_DEP_2) | instskip(NEXT) | instid1(VALU_DEP_2)
	v_fmac_f32_e32 v43, 0x3e9e377a, v40
	v_fmac_f32_e32 v34, 0x3e9e377a, v40
	v_dual_add_f32 v40, v55, v51 :: v_dual_mul_f32 v51, 0xbe9e377a, v2
	s_delay_alu instid0(VALU_DEP_2) | instskip(NEXT) | instid1(VALU_DEP_2)
	v_dual_fmac_f32 v47, 0x3f167918, v43 :: v_dual_fmac_f32 v54, 0x3f167918, v34
	v_fma_f32 v3, -0.5, v40, v3
	v_dual_sub_f32 v40, v59, v55 :: v_dual_mul_f32 v55, 0xbf167918, v37
	s_delay_alu instid0(VALU_DEP_3) | instskip(NEXT) | instid1(VALU_DEP_4)
	v_add_f32_e32 v42, v28, v47
	v_add_f32_e32 v80, v26, v54
	s_delay_alu instid0(VALU_DEP_4) | instskip(NEXT) | instid1(VALU_DEP_4)
	v_fmamk_f32 v46, v38, 0x3f737871, v3
	v_dual_fmac_f32 v3, 0xbf737871, v38 :: v_dual_add_f32 v40, v40, v41
	v_add_f32_e32 v41, v27, v64
	v_fmac_f32_e32 v55, 0x3f4f1bbd, v43
	v_sub_f32_e32 v59, v67, v71
	s_delay_alu instid0(VALU_DEP_4) | instskip(NEXT) | instid1(VALU_DEP_3)
	v_fmac_f32_e32 v3, 0x3f167918, v36
	v_add_f32_e32 v43, v33, v55
	v_sub_f32_e32 v33, v33, v55
	s_delay_alu instid0(VALU_DEP_3) | instskip(SKIP_1) | instid1(VALU_DEP_2)
	v_fmac_f32_e32 v3, 0x3e9e377a, v40
	v_sub_f32_e32 v55, v75, v79
	v_fmac_f32_e32 v51, 0x3f737871, v3
	v_mul_f32_e32 v3, 0xbe9e377a, v3
	s_delay_alu instid0(VALU_DEP_1) | instskip(SKIP_1) | instid1(VALU_DEP_1)
	v_dual_add_f32 v38, v30, v51 :: v_dual_fmac_f32 v3, 0xbf737871, v2
	v_mul_f32_e32 v2, 0xbf4f1bbd, v34
	v_fmac_f32_e32 v2, 0xbf167918, v32
	v_sub_f32_e32 v32, v28, v47
	v_sub_f32_e32 v28, v30, v51
	v_sub_f32_e32 v51, v66, v70
	ds_load_2addr_b64 v[4:7], v234 offset0:128 offset1:224
	ds_load_2addr_b64 v[16:19], v201 offset0:64 offset1:160
	ds_load_2addr_b64 v[20:23], v235 offset1:96
	ds_load_2addr_b64 v[8:11], v236 offset0:64 offset1:160
	ds_load_2addr_b64 v[12:15], v233 offset0:128 offset1:224
	v_dual_fmac_f32 v46, 0xbf167918, v36 :: v_dual_add_f32 v81, v60, v2
	v_sub_f32_e32 v30, v26, v54
	v_sub_f32_e32 v47, v70, v66
	global_wb scope:SCOPE_SE
	s_wait_dscnt 0x0
	v_fmac_f32_e32 v46, 0x3e9e377a, v40
	v_add_f32_e32 v40, v25, v29
	v_sub_f32_e32 v29, v61, v3
	s_barrier_signal -1
	s_barrier_wait -1
	v_mul_f32_e32 v50, 0x3f737871, v46
	v_fmac_f32_e32 v58, 0x3e9e377a, v46
	v_sub_f32_e32 v46, v74, v78
	global_inv scope:SCOPE_SE
	v_fmac_f32_e32 v50, 0x3e9e377a, v39
	v_add_f32_e32 v39, v61, v3
	v_sub_f32_e32 v3, v79, v67
	v_dual_add_f32 v46, v46, v47 :: v_dual_add_f32 v37, v35, v58
	s_delay_alu instid0(VALU_DEP_4)
	v_add_f32_e32 v36, v31, v50
	v_sub_f32_e32 v34, v31, v50
	v_sub_f32_e32 v31, v60, v2
	v_add_f32_e32 v2, v62, v74
	v_sub_f32_e32 v50, v78, v74
	v_sub_f32_e32 v35, v35, v58
	;; [unrolled: 1-line block ×4, first 2 shown]
	v_add_f32_e32 v2, v2, v78
	v_dual_add_f32 v50, v50, v51 :: v_dual_sub_f32 v61, v16, v20
	s_delay_alu instid0(VALU_DEP_4) | instskip(SKIP_1) | instid1(VALU_DEP_4)
	v_add_f32_e32 v55, v55, v58
	v_sub_f32_e32 v58, v79, v75
	v_add_f32_e32 v2, v2, v66
	v_sub_f32_e32 v64, v8, v12
	s_delay_alu instid0(VALU_DEP_3) | instskip(NEXT) | instid1(VALU_DEP_3)
	v_add_f32_e32 v58, v58, v59
	v_add_f32_e32 v25, v2, v70
	;; [unrolled: 1-line block ×3, first 2 shown]
	s_delay_alu instid0(VALU_DEP_1) | instskip(SKIP_1) | instid1(VALU_DEP_1)
	v_fma_f32 v26, -0.5, v2, v62
	v_sub_f32_e32 v2, v75, v71
	v_fmamk_f32 v27, v2, 0x3f737871, v26
	v_fmac_f32_e32 v26, 0xbf737871, v2
	s_delay_alu instid0(VALU_DEP_2) | instskip(NEXT) | instid1(VALU_DEP_2)
	v_fmac_f32_e32 v27, 0x3f167918, v3
	v_fmac_f32_e32 v26, 0xbf167918, v3
	s_delay_alu instid0(VALU_DEP_2) | instskip(NEXT) | instid1(VALU_DEP_2)
	v_fmac_f32_e32 v27, 0x3e9e377a, v46
	v_fmac_f32_e32 v26, 0x3e9e377a, v46
	v_add_f32_e32 v46, v74, v70
	s_delay_alu instid0(VALU_DEP_1) | instskip(NEXT) | instid1(VALU_DEP_1)
	v_fma_f32 v46, -0.5, v46, v62
	v_dual_sub_f32 v62, v12, v8 :: v_dual_fmamk_f32 v47, v3, 0xbf737871, v46
	v_dual_fmac_f32 v46, 0x3f737871, v3 :: v_dual_sub_f32 v3, v78, v66
	s_delay_alu instid0(VALU_DEP_2) | instskip(NEXT) | instid1(VALU_DEP_3)
	v_dual_add_f32 v61, v61, v62 :: v_dual_sub_f32 v62, v20, v16
	v_fmac_f32_e32 v47, 0x3f167918, v2
	s_delay_alu instid0(VALU_DEP_3) | instskip(SKIP_1) | instid1(VALU_DEP_3)
	v_fmac_f32_e32 v46, 0xbf167918, v2
	v_add_f32_e32 v2, v63, v75
	v_dual_add_f32 v62, v62, v64 :: v_dual_fmac_f32 v47, 0x3e9e377a, v50
	s_delay_alu instid0(VALU_DEP_3) | instskip(NEXT) | instid1(VALU_DEP_3)
	v_fmac_f32_e32 v46, 0x3e9e377a, v50
	v_add_f32_e32 v2, v2, v79
	s_delay_alu instid0(VALU_DEP_1) | instskip(NEXT) | instid1(VALU_DEP_1)
	v_add_f32_e32 v2, v2, v67
	v_add_f32_e32 v50, v2, v71
	;; [unrolled: 1-line block ×3, first 2 shown]
	s_delay_alu instid0(VALU_DEP_1) | instskip(SKIP_1) | instid1(VALU_DEP_1)
	v_fma_f32 v51, -0.5, v2, v63
	v_sub_f32_e32 v2, v74, v70
	v_fmamk_f32 v54, v2, 0xbf737871, v51
	v_fmac_f32_e32 v51, 0x3f737871, v2
	s_delay_alu instid0(VALU_DEP_2) | instskip(NEXT) | instid1(VALU_DEP_2)
	v_fmac_f32_e32 v54, 0xbf167918, v3
	v_fmac_f32_e32 v51, 0x3f167918, v3
	s_delay_alu instid0(VALU_DEP_2) | instskip(NEXT) | instid1(VALU_DEP_2)
	v_fmac_f32_e32 v54, 0x3e9e377a, v55
	v_fmac_f32_e32 v51, 0x3e9e377a, v55
	v_add_f32_e32 v55, v75, v71
	s_delay_alu instid0(VALU_DEP_1) | instskip(NEXT) | instid1(VALU_DEP_1)
	v_fmac_f32_e32 v63, -0.5, v55
	v_fmamk_f32 v55, v3, 0x3f737871, v63
	v_fmac_f32_e32 v63, 0xbf737871, v3
	s_delay_alu instid0(VALU_DEP_2) | instskip(NEXT) | instid1(VALU_DEP_2)
	v_fmac_f32_e32 v55, 0xbf167918, v2
	v_dual_fmac_f32 v63, 0x3f167918, v2 :: v_dual_add_f32 v2, v4, v16
	s_delay_alu instid0(VALU_DEP_2) | instskip(NEXT) | instid1(VALU_DEP_2)
	v_fmac_f32_e32 v55, 0x3e9e377a, v58
	v_dual_fmac_f32 v63, 0x3e9e377a, v58 :: v_dual_add_f32 v2, v2, v20
	s_delay_alu instid0(VALU_DEP_1) | instskip(NEXT) | instid1(VALU_DEP_1)
	v_add_f32_e32 v2, v2, v8
	v_add_f32_e32 v58, v2, v12
	v_add_f32_e32 v2, v20, v8
	v_sub_f32_e32 v8, v20, v8
	v_sub_f32_e32 v20, v13, v9
	s_delay_alu instid0(VALU_DEP_4) | instskip(NEXT) | instid1(VALU_DEP_4)
	v_add_f32_e32 v72, v25, v58
	v_fma_f32 v3, -0.5, v2, v4
	v_sub_f32_e32 v2, v17, v13
	s_delay_alu instid0(VALU_DEP_1) | instskip(SKIP_1) | instid1(VALU_DEP_2)
	v_fmamk_f32 v59, v2, 0x3f737871, v3
	v_fmac_f32_e32 v3, 0xbf737871, v2
	v_fmac_f32_e32 v59, 0x3f167918, v60
	s_delay_alu instid0(VALU_DEP_2) | instskip(NEXT) | instid1(VALU_DEP_2)
	v_fmac_f32_e32 v3, 0xbf167918, v60
	v_fmac_f32_e32 v59, 0x3e9e377a, v61
	s_delay_alu instid0(VALU_DEP_2) | instskip(SKIP_1) | instid1(VALU_DEP_1)
	v_fmac_f32_e32 v3, 0x3e9e377a, v61
	v_add_f32_e32 v61, v16, v12
	v_fma_f32 v4, -0.5, v61, v4
	s_delay_alu instid0(VALU_DEP_1) | instskip(SKIP_1) | instid1(VALU_DEP_2)
	v_fmamk_f32 v61, v60, 0xbf737871, v4
	v_fmac_f32_e32 v4, 0x3f737871, v60
	v_fmac_f32_e32 v61, 0x3f167918, v2
	s_delay_alu instid0(VALU_DEP_2) | instskip(NEXT) | instid1(VALU_DEP_2)
	v_fmac_f32_e32 v4, 0xbf167918, v2
	v_dual_add_f32 v2, v5, v17 :: v_dual_fmac_f32 v61, 0x3e9e377a, v62
	s_delay_alu instid0(VALU_DEP_2) | instskip(NEXT) | instid1(VALU_DEP_2)
	v_fmac_f32_e32 v4, 0x3e9e377a, v62
	v_add_f32_e32 v2, v2, v21
	s_delay_alu instid0(VALU_DEP_1) | instskip(NEXT) | instid1(VALU_DEP_1)
	v_add_f32_e32 v2, v2, v9
	v_add_f32_e32 v62, v2, v13
	;; [unrolled: 1-line block ×3, first 2 shown]
	v_sub_f32_e32 v9, v9, v13
	s_delay_alu instid0(VALU_DEP_3) | instskip(NEXT) | instid1(VALU_DEP_3)
	v_add_f32_e32 v73, v50, v62
	v_fma_f32 v60, -0.5, v2, v5
	v_sub_f32_e32 v2, v16, v12
	v_sub_f32_e32 v16, v17, v21
	s_delay_alu instid0(VALU_DEP_2) | instskip(SKIP_1) | instid1(VALU_DEP_3)
	v_fmamk_f32 v12, v2, 0xbf737871, v60
	v_fmac_f32_e32 v60, 0x3f737871, v2
	v_add_f32_e32 v16, v16, v20
	v_mul_f32_e32 v20, 0xbf167918, v59
	s_delay_alu instid0(VALU_DEP_4) | instskip(NEXT) | instid1(VALU_DEP_4)
	v_fmac_f32_e32 v12, 0xbf167918, v8
	v_fmac_f32_e32 v60, 0x3f167918, v8
	s_delay_alu instid0(VALU_DEP_2) | instskip(NEXT) | instid1(VALU_DEP_2)
	v_fmac_f32_e32 v12, 0x3e9e377a, v16
	v_fmac_f32_e32 v60, 0x3e9e377a, v16
	v_add_f32_e32 v16, v17, v13
	v_sub_f32_e32 v17, v21, v17
	v_mul_f32_e32 v13, 0xbe9e377a, v4
	v_fmac_f32_e32 v20, 0x3f4f1bbd, v12
	v_mul_f32_e32 v21, 0xbf4f1bbd, v60
	v_fma_f32 v5, -0.5, v16, v5
	v_add_f32_e32 v9, v17, v9
	v_mul_f32_e32 v17, 0xbf4f1bbd, v3
	v_add_f32_e32 v75, v54, v20
	v_fmac_f32_e32 v21, 0xbf167918, v3
	v_fmamk_f32 v16, v8, 0x3f737871, v5
	v_fmac_f32_e32 v5, 0xbf737871, v8
	v_dual_mul_f32 v8, 0x3f4f1bbd, v59 :: v_dual_sub_f32 v65, v54, v20
	s_delay_alu instid0(VALU_DEP_3) | instskip(NEXT) | instid1(VALU_DEP_2)
	v_dual_add_f32 v3, v51, v21 :: v_dual_fmac_f32 v16, 0xbf167918, v2
	v_dual_fmac_f32 v5, 0x3f167918, v2 :: v_dual_fmac_f32 v8, 0x3f167918, v12
	v_mul_f32_e32 v12, 0xbf737871, v61
	v_fmac_f32_e32 v17, 0x3f167918, v60
	s_delay_alu instid0(VALU_DEP_4) | instskip(NEXT) | instid1(VALU_DEP_4)
	v_fmac_f32_e32 v16, 0x3e9e377a, v9
	v_dual_fmac_f32 v5, 0x3e9e377a, v9 :: v_dual_add_f32 v74, v27, v8
	v_sub_f32_e32 v64, v27, v8
	v_add_f32_e32 v8, v0, v52
	s_delay_alu instid0(VALU_DEP_4) | instskip(NEXT) | instid1(VALU_DEP_4)
	v_mul_f32_e32 v9, 0x3f737871, v16
	v_fmac_f32_e32 v13, 0x3f737871, v5
	v_fmac_f32_e32 v12, 0x3e9e377a, v16
	v_mul_f32_e32 v16, 0xbe9e377a, v5
	s_delay_alu instid0(VALU_DEP_4) | instskip(SKIP_1) | instid1(VALU_DEP_4)
	v_dual_add_f32 v8, v8, v56 :: v_dual_fmac_f32 v9, 0x3e9e377a, v61
	v_sub_f32_e32 v61, v51, v21
	v_dual_add_f32 v70, v46, v13 :: v_dual_add_f32 v69, v55, v12
	s_delay_alu instid0(VALU_DEP_3) | instskip(NEXT) | instid1(VALU_DEP_4)
	v_add_f32_e32 v8, v8, v44
	v_add_f32_e32 v68, v47, v9
	v_fmac_f32_e32 v16, 0xbf737871, v4
	v_sub_f32_e32 v4, v25, v58
	v_sub_f32_e32 v66, v47, v9
	v_add_f32_e32 v20, v8, v48
	v_add_f32_e32 v8, v56, v44
	v_dual_sub_f32 v58, v46, v13 :: v_dual_sub_f32 v67, v55, v12
	v_dual_sub_f32 v9, v57, v45 :: v_dual_sub_f32 v12, v52, v56
	s_delay_alu instid0(VALU_DEP_3) | instskip(SKIP_4) | instid1(VALU_DEP_4)
	v_fma_f32 v21, -0.5, v8, v0
	v_dual_sub_f32 v8, v53, v49 :: v_dual_sub_f32 v13, v48, v44
	v_add_f32_e32 v2, v26, v17
	v_sub_f32_e32 v60, v26, v17
	v_sub_f32_e32 v5, v50, v62
	v_fmamk_f32 v25, v8, 0x3f737871, v21
	v_dual_fmac_f32 v21, 0xbf737871, v8 :: v_dual_add_f32 v12, v12, v13
	v_sub_f32_e32 v13, v44, v48
	v_add_f32_e32 v71, v63, v16
	s_delay_alu instid0(VALU_DEP_4) | instskip(NEXT) | instid1(VALU_DEP_4)
	v_fmac_f32_e32 v25, 0x3f167918, v9
	v_fmac_f32_e32 v21, 0xbf167918, v9
	v_dual_sub_f32 v59, v63, v16 :: v_dual_sub_f32 v16, v14, v10
	s_delay_alu instid0(VALU_DEP_3) | instskip(NEXT) | instid1(VALU_DEP_3)
	v_fmac_f32_e32 v25, 0x3e9e377a, v12
	v_fmac_f32_e32 v21, 0x3e9e377a, v12
	v_add_f32_e32 v12, v52, v48
	s_delay_alu instid0(VALU_DEP_1) | instskip(SKIP_1) | instid1(VALU_DEP_2)
	v_fma_f32 v0, -0.5, v12, v0
	v_sub_f32_e32 v12, v56, v52
	v_fmamk_f32 v26, v9, 0xbf737871, v0
	v_fmac_f32_e32 v0, 0x3f737871, v9
	s_delay_alu instid0(VALU_DEP_3) | instskip(SKIP_1) | instid1(VALU_DEP_4)
	v_add_f32_e32 v12, v12, v13
	v_sub_f32_e32 v9, v56, v44
	v_dual_sub_f32 v13, v49, v45 :: v_dual_fmac_f32 v26, 0x3f167918, v8
	s_delay_alu instid0(VALU_DEP_4) | instskip(SKIP_1) | instid1(VALU_DEP_3)
	v_fmac_f32_e32 v0, 0xbf167918, v8
	v_add_f32_e32 v8, v1, v53
	v_fmac_f32_e32 v26, 0x3e9e377a, v12
	s_delay_alu instid0(VALU_DEP_3) | instskip(NEXT) | instid1(VALU_DEP_3)
	v_fmac_f32_e32 v0, 0x3e9e377a, v12
	v_add_f32_e32 v8, v8, v57
	v_sub_f32_e32 v12, v53, v57
	s_delay_alu instid0(VALU_DEP_2) | instskip(NEXT) | instid1(VALU_DEP_2)
	v_add_f32_e32 v8, v8, v45
	v_add_f32_e32 v12, v12, v13
	v_sub_f32_e32 v13, v45, v49
	s_delay_alu instid0(VALU_DEP_3) | instskip(SKIP_1) | instid1(VALU_DEP_1)
	v_add_f32_e32 v27, v8, v49
	v_add_f32_e32 v8, v57, v45
	v_fma_f32 v47, -0.5, v8, v1
	v_sub_f32_e32 v8, v52, v48
	s_delay_alu instid0(VALU_DEP_1) | instskip(SKIP_1) | instid1(VALU_DEP_2)
	v_fmamk_f32 v48, v8, 0xbf737871, v47
	v_fmac_f32_e32 v47, 0x3f737871, v8
	v_fmac_f32_e32 v48, 0xbf167918, v9
	s_delay_alu instid0(VALU_DEP_2) | instskip(NEXT) | instid1(VALU_DEP_2)
	v_fmac_f32_e32 v47, 0x3f167918, v9
	v_fmac_f32_e32 v48, 0x3e9e377a, v12
	s_delay_alu instid0(VALU_DEP_2) | instskip(NEXT) | instid1(VALU_DEP_1)
	v_dual_fmac_f32 v47, 0x3e9e377a, v12 :: v_dual_add_f32 v12, v53, v49
	v_dual_fmac_f32 v1, -0.5, v12 :: v_dual_sub_f32 v12, v57, v53
	s_delay_alu instid0(VALU_DEP_1) | instskip(SKIP_1) | instid1(VALU_DEP_3)
	v_fmamk_f32 v50, v9, 0x3f737871, v1
	v_fmac_f32_e32 v1, 0xbf737871, v9
	v_dual_add_f32 v12, v12, v13 :: v_dual_sub_f32 v9, v23, v11
	s_delay_alu instid0(VALU_DEP_3) | instskip(NEXT) | instid1(VALU_DEP_3)
	v_fmac_f32_e32 v50, 0xbf167918, v8
	v_dual_fmac_f32 v1, 0x3f167918, v8 :: v_dual_add_f32 v8, v6, v18
	s_delay_alu instid0(VALU_DEP_2) | instskip(NEXT) | instid1(VALU_DEP_2)
	v_fmac_f32_e32 v50, 0x3e9e377a, v12
	v_dual_fmac_f32 v1, 0x3e9e377a, v12 :: v_dual_add_f32 v8, v8, v22
	v_sub_f32_e32 v12, v18, v22
	s_delay_alu instid0(VALU_DEP_2) | instskip(NEXT) | instid1(VALU_DEP_2)
	v_add_f32_e32 v8, v8, v10
	v_add_f32_e32 v12, v12, v16
	v_sub_f32_e32 v16, v10, v14
	s_delay_alu instid0(VALU_DEP_3) | instskip(SKIP_1) | instid1(VALU_DEP_1)
	v_add_f32_e32 v44, v8, v14
	v_add_f32_e32 v8, v22, v10
	v_fma_f32 v17, -0.5, v8, v6
	v_sub_f32_e32 v8, v19, v15
	s_delay_alu instid0(VALU_DEP_1) | instskip(SKIP_1) | instid1(VALU_DEP_2)
	v_fmamk_f32 v13, v8, 0x3f737871, v17
	v_fmac_f32_e32 v17, 0xbf737871, v8
	v_fmac_f32_e32 v13, 0x3f167918, v9
	s_delay_alu instid0(VALU_DEP_2) | instskip(NEXT) | instid1(VALU_DEP_2)
	v_fmac_f32_e32 v17, 0xbf167918, v9
	v_fmac_f32_e32 v13, 0x3e9e377a, v12
	s_delay_alu instid0(VALU_DEP_2) | instskip(NEXT) | instid1(VALU_DEP_2)
	v_dual_fmac_f32 v17, 0x3e9e377a, v12 :: v_dual_add_f32 v12, v18, v14
	v_mul_f32_e32 v53, 0xbf167918, v13
	s_delay_alu instid0(VALU_DEP_2) | instskip(NEXT) | instid1(VALU_DEP_3)
	v_mul_f32_e32 v52, 0xbf4f1bbd, v17
	v_fma_f32 v6, -0.5, v12, v6
	s_delay_alu instid0(VALU_DEP_1) | instskip(SKIP_1) | instid1(VALU_DEP_2)
	v_dual_sub_f32 v12, v22, v18 :: v_dual_fmamk_f32 v45, v9, 0xbf737871, v6
	v_fmac_f32_e32 v6, 0x3f737871, v9
	v_dual_add_f32 v12, v12, v16 :: v_dual_sub_f32 v9, v22, v10
	s_delay_alu instid0(VALU_DEP_3) | instskip(NEXT) | instid1(VALU_DEP_3)
	v_dual_sub_f32 v10, v19, v23 :: v_dual_fmac_f32 v45, 0x3f167918, v8
	v_fmac_f32_e32 v6, 0xbf167918, v8
	s_delay_alu instid0(VALU_DEP_2) | instskip(NEXT) | instid1(VALU_DEP_2)
	v_dual_add_f32 v8, v7, v19 :: v_dual_fmac_f32 v45, 0x3e9e377a, v12
	v_fmac_f32_e32 v6, 0x3e9e377a, v12
	s_delay_alu instid0(VALU_DEP_2) | instskip(NEXT) | instid1(VALU_DEP_2)
	v_add_f32_e32 v8, v8, v23
	v_dual_sub_f32 v12, v15, v11 :: v_dual_mul_f32 v51, 0xbe9e377a, v6
	s_delay_alu instid0(VALU_DEP_2) | instskip(NEXT) | instid1(VALU_DEP_1)
	v_add_f32_e32 v8, v8, v11
	v_dual_add_f32 v10, v10, v12 :: v_dual_add_f32 v49, v8, v15
	v_add_f32_e32 v8, v23, v11
	v_sub_f32_e32 v11, v11, v15
	s_delay_alu instid0(VALU_DEP_2) | instskip(SKIP_1) | instid1(VALU_DEP_1)
	v_fma_f32 v46, -0.5, v8, v7
	v_sub_f32_e32 v8, v18, v14
	v_fmamk_f32 v18, v8, 0xbf737871, v46
	v_fmac_f32_e32 v46, 0x3f737871, v8
	s_delay_alu instid0(VALU_DEP_2) | instskip(NEXT) | instid1(VALU_DEP_2)
	v_fmac_f32_e32 v18, 0xbf167918, v9
	v_fmac_f32_e32 v46, 0x3f167918, v9
	s_delay_alu instid0(VALU_DEP_2) | instskip(NEXT) | instid1(VALU_DEP_2)
	v_fmac_f32_e32 v18, 0x3e9e377a, v10
	v_fmac_f32_e32 v46, 0x3e9e377a, v10
	s_delay_alu instid0(VALU_DEP_2) | instskip(NEXT) | instid1(VALU_DEP_2)
	v_dual_add_f32 v10, v19, v15 :: v_dual_fmac_f32 v53, 0x3f4f1bbd, v18
	v_fmac_f32_e32 v52, 0x3f167918, v46
	s_delay_alu instid0(VALU_DEP_2) | instskip(NEXT) | instid1(VALU_DEP_2)
	v_dual_fmac_f32 v7, -0.5, v10 :: v_dual_sub_f32 v10, v23, v19
	v_dual_mul_f32 v19, 0x3f4f1bbd, v13 :: v_dual_add_f32 v16, v21, v52
	s_delay_alu instid0(VALU_DEP_2) | instskip(NEXT) | instid1(VALU_DEP_3)
	v_fmamk_f32 v22, v9, 0x3f737871, v7
	v_dual_fmac_f32 v7, 0xbf737871, v9 :: v_dual_add_f32 v10, v10, v11
	s_delay_alu instid0(VALU_DEP_3) | instskip(NEXT) | instid1(VALU_DEP_3)
	v_dual_fmac_f32 v19, 0x3f167918, v18 :: v_dual_sub_f32 v18, v20, v44
	v_fmac_f32_e32 v22, 0xbf167918, v8
	s_delay_alu instid0(VALU_DEP_3) | instskip(SKIP_1) | instid1(VALU_DEP_4)
	v_fmac_f32_e32 v7, 0x3f167918, v8
	v_dual_add_f32 v8, v20, v44 :: v_dual_add_f32 v9, v27, v49
	v_sub_f32_e32 v20, v25, v19
	s_delay_alu instid0(VALU_DEP_4) | instskip(NEXT) | instid1(VALU_DEP_4)
	v_fmac_f32_e32 v22, 0x3e9e377a, v10
	v_dual_fmac_f32 v7, 0x3e9e377a, v10 :: v_dual_add_f32 v10, v25, v19
	v_sub_f32_e32 v19, v27, v49
	v_add_f32_e32 v11, v48, v53
	s_delay_alu instid0(VALU_DEP_4) | instskip(NEXT) | instid1(VALU_DEP_4)
	v_mul_f32_e32 v23, 0x3f737871, v22
	v_fmac_f32_e32 v51, 0x3f737871, v7
	v_mul_f32_e32 v7, 0xbe9e377a, v7
	s_delay_alu instid0(VALU_DEP_2)
	v_dual_fmac_f32 v23, 0x3e9e377a, v45 :: v_dual_add_f32 v14, v0, v51
	v_sub_f32_e32 v44, v0, v51
	v_mul_lo_u16 v0, v140, 10
	v_mul_f32_e32 v45, 0xbf737871, v45
	v_fmac_f32_e32 v7, 0xbf737871, v6
	v_mul_f32_e32 v6, 0xbf4f1bbd, v46
	v_add_f32_e32 v12, v26, v23
	v_and_b32_e32 v0, 0xffff, v0
	v_fmac_f32_e32 v45, 0x3e9e377a, v22
	s_delay_alu instid0(VALU_DEP_4) | instskip(NEXT) | instid1(VALU_DEP_3)
	v_dual_add_f32 v15, v1, v7 :: v_dual_fmac_f32 v6, 0xbf167918, v17
	v_dual_sub_f32 v22, v26, v23 :: v_dual_lshlrev_b32 v27, 3, v0
	v_mul_u32_u24_e32 v0, 10, v112
	ds_store_b128 v27, v[40:43]
	ds_store_b128 v27, v[36:39] offset:16
	ds_store_b128 v27, v[80:83] offset:32
	;; [unrolled: 1-line block ×4, first 2 shown]
	v_dual_add_f32 v13, v50, v45 :: v_dual_lshlrev_b32 v0, 3, v0
	v_dual_add_f32 v17, v47, v6 :: v_dual_sub_f32 v46, v21, v52
	v_sub_f32_e32 v21, v48, v53
	ds_store_b128 v0, v[72:75]
	scratch_store_b32 off, v0, off offset:420 ; 4-byte Folded Spill
	ds_store_b128 v0, v[68:71] offset:16
	ds_store_b128 v0, v[2:5] offset:32
	;; [unrolled: 1-line block ×4, first 2 shown]
	v_mul_u32_u24_e32 v0, 10, v113
	v_sub_f32_e32 v23, v50, v45
	v_sub_f32_e32 v45, v1, v7
	s_delay_alu instid0(VALU_DEP_3)
	v_dual_sub_f32 v47, v47, v6 :: v_dual_lshlrev_b32 v0, 3, v0
	ds_store_b128 v0, v[8:11]
	v_and_b32_e32 v8, 0xff, v140
	scratch_store_b32 off, v0, off offset:288 ; 4-byte Folded Spill
	ds_store_b128 v0, v[12:15] offset:16
	ds_store_b128 v0, v[16:19] offset:32
	;; [unrolled: 1-line block ×4, first 2 shown]
	global_wb scope:SCOPE_SE
	s_wait_storecnt_dscnt 0x0
	s_barrier_signal -1
	v_mul_lo_u16 v8, 0xcd, v8
	s_barrier_wait -1
	global_inv scope:SCOPE_SE
	ds_load_2addr_b64 v[36:39], v24 offset1:96
	ds_load_2addr_b64 v[0:3], v234 offset0:128 offset1:224
	ds_load_2addr_b64 v[16:19], v201 offset0:64 offset1:160
	ds_load_2addr_b64 v[58:61], v200 offset0:64 offset1:160
	ds_load_2addr_b64 v[20:23], v237 offset0:128 offset1:224
	ds_load_2addr_b64 v[48:51], v244 offset1:96
	ds_load_2addr_b64 v[32:35], v213 offset0:64 offset1:160
	ds_load_2addr_b64 v[40:43], v235 offset1:96
	ds_load_2addr_b64 v[86:89], v215 offset0:64 offset1:160
	ds_load_2addr_b64 v[4:7], v245 offset0:64 offset1:160
	;; [unrolled: 1-line block ×4, first 2 shown]
	ds_load_2addr_b64 v[62:65], v199 offset1:96
	ds_load_2addr_b64 v[54:57], v214 offset0:64 offset1:160
	ds_load_2addr_b64 v[44:47], v233 offset0:128 offset1:224
	v_add_nc_u32_e32 v12, 0x2c00, v24
	v_lshrrev_b16 v100, 11, v8
	v_dual_mov_b32 v14, v199 :: v_dual_mov_b32 v15, v213
	v_mov_b32_e32 v13, v211
	s_delay_alu instid0(VALU_DEP_3) | instskip(SKIP_1) | instid1(VALU_DEP_2)
	v_mul_lo_u16 v8, v100, 10
	v_and_b32_e32 v100, 0xffff, v100
	v_sub_nc_u16 v8, v140, v8
	s_delay_alu instid0(VALU_DEP_2) | instskip(NEXT) | instid1(VALU_DEP_2)
	v_mul_u32_u24_e32 v100, 60, v100
	v_and_b32_e32 v101, 0xff, v8
	s_delay_alu instid0(VALU_DEP_1)
	v_mad_co_u64_u32 v[8:9], null, v101, 40, s[6:7]
	s_clause 0x2
	global_load_b64 v[10:11], v[8:9], off offset:32
	global_load_b128 v[193:196], v[8:9], off offset:16
	global_load_b128 v[189:192], v[8:9], off
	s_wait_loadcnt 0x2
	scratch_store_b64 off, v[10:11], off offset:512 ; 8-byte Folded Spill
	s_wait_loadcnt_dscnt 0x10b
	v_mul_f32_e32 v73, v60, v194
	s_wait_loadcnt 0x0
	v_dual_mul_f32 v8, v3, v190 :: v_dual_mul_f32 v81, v16, v192
	s_wait_dscnt 0xa
	v_mul_f32_e32 v85, v20, v196
	v_fmac_f32_e32 v73, v61, v193
	s_delay_alu instid0(VALU_DEP_3) | instskip(SKIP_3) | instid1(VALU_DEP_3)
	v_fma_f32 v72, v2, v189, -v8
	v_mul_f32_e32 v2, v2, v190
	v_mul_f32_e32 v8, v21, v196
	v_fmac_f32_e32 v81, v17, v191
	v_dual_fmac_f32 v85, v21, v195 :: v_dual_fmac_f32 v2, v3, v189
	v_mul_f32_e32 v3, v17, v192
	s_delay_alu instid0(VALU_DEP_4) | instskip(SKIP_2) | instid1(VALU_DEP_3)
	v_fma_f32 v82, v20, v195, -v8
	s_wait_dscnt 0x9
	v_mul_f32_e32 v8, v51, v11
	v_fma_f32 v78, v16, v191, -v3
	v_mul_f32_e32 v3, v61, v194
	v_mul_f32_e32 v61, v50, v11
	v_mov_b32_e32 v11, v214
	s_delay_alu instid0(VALU_DEP_3) | instskip(SKIP_3) | instid1(VALU_DEP_2)
	v_fma_f32 v3, v60, v193, -v3
	v_fma_f32 v60, v50, v10, -v8
	v_mul_lo_u16 v8, 0xcd, v114
	v_dual_fmac_f32 v61, v51, v10 :: v_dual_mov_b32 v10, v233
	v_lshrrev_b16 v102, 11, v8
	s_delay_alu instid0(VALU_DEP_1) | instskip(NEXT) | instid1(VALU_DEP_1)
	v_mul_lo_u16 v8, v102, 10
	v_sub_nc_u16 v8, v112, v8
	s_delay_alu instid0(VALU_DEP_1) | instskip(NEXT) | instid1(VALU_DEP_1)
	v_and_b32_e32 v103, 0xff, v8
	v_mad_co_u64_u32 v[16:17], null, v103, 40, s[6:7]
	s_clause 0x2
	global_load_b64 v[8:9], v[16:17], off offset:32
	global_load_b128 v[160:163], v[16:17], off offset:16
	global_load_b128 v[28:31], v[16:17], off
	s_wait_loadcnt_dscnt 0x206
	v_mul_f32_e32 v80, v86, v9
	s_wait_loadcnt 0x1
	v_mul_f32_e32 v84, v22, v163
	s_wait_loadcnt 0x0
	v_dual_mul_f32 v16, v33, v29 :: v_dual_mul_f32 v77, v18, v31
	scratch_store_b64 off, v[8:9], off offset:304 ; 8-byte Folded Spill
	v_fmac_f32_e32 v80, v87, v8
	v_fmac_f32_e32 v84, v23, v162
	v_fma_f32 v50, v32, v28, -v16
	v_mul_f32_e32 v16, v19, v31
	v_fmac_f32_e32 v77, v19, v30
	v_mul_f32_e32 v51, v32, v29
	v_mul_f32_e32 v75, v40, v161
	s_delay_alu instid0(VALU_DEP_4) | instskip(SKIP_1) | instid1(VALU_DEP_4)
	v_fma_f32 v76, v18, v30, -v16
	v_mul_f32_e32 v16, v41, v161
	v_fmac_f32_e32 v51, v33, v28
	s_delay_alu instid0(VALU_DEP_4) | instskip(NEXT) | instid1(VALU_DEP_3)
	v_fmac_f32_e32 v75, v41, v160
	v_fma_f32 v74, v40, v160, -v16
	v_mul_f32_e32 v16, v23, v163
	s_delay_alu instid0(VALU_DEP_1) | instskip(SKIP_1) | instid1(VALU_DEP_1)
	v_fma_f32 v83, v22, v162, -v16
	v_mul_f32_e32 v16, v87, v9
	v_fma_f32 v79, v86, v8, -v16
	v_mul_u32_u24_e32 v16, 0xcccd, v115
	s_delay_alu instid0(VALU_DEP_1) | instskip(NEXT) | instid1(VALU_DEP_1)
	v_lshrrev_b32_e32 v104, 19, v16
	v_mul_lo_u16 v16, v104, 10
	s_delay_alu instid0(VALU_DEP_1) | instskip(NEXT) | instid1(VALU_DEP_1)
	v_sub_nc_u16 v105, v113, v16
	v_mul_lo_u16 v16, v105, 40
	s_delay_alu instid0(VALU_DEP_1) | instskip(NEXT) | instid1(VALU_DEP_1)
	v_and_b32_e32 v16, 0xffff, v16
	v_add_co_u32 v20, s8, s6, v16
	s_wait_alu 0xf1ff
	v_add_co_ci_u32_e64 v21, null, s7, 0, s8
	s_clause 0x2
	global_load_b64 v[8:9], v[20:21], off offset:32
	global_load_b128 v[16:19], v[20:21], off offset:16
	global_load_b128 v[20:23], v[20:21], off
	s_wait_loadcnt 0x2
	scratch_store_b64 off, v[8:9], off offset:316 ; 8-byte Folded Spill
	s_wait_loadcnt_dscnt 0x3
	v_dual_mul_f32 v122, v66, v19 :: v_dual_mul_f32 v25, v35, v21
	v_mul_f32_e32 v111, v34, v21
	v_mul_f32_e32 v120, v42, v17
	s_delay_alu instid0(VALU_DEP_3) | instskip(NEXT) | instid1(VALU_DEP_4)
	v_dual_mul_f32 v119, v90, v23 :: v_dual_fmac_f32 v122, v67, v18
	v_fma_f32 v110, v34, v20, -v25
	v_mul_f32_e32 v25, v91, v23
	v_fmac_f32_e32 v111, v35, v20
	v_fmac_f32_e32 v120, v43, v16
	;; [unrolled: 1-line block ×3, first 2 shown]
	s_delay_alu instid0(VALU_DEP_4) | instskip(SKIP_1) | instid1(VALU_DEP_1)
	v_fma_f32 v117, v90, v22, -v25
	v_mul_f32_e32 v25, v43, v17
	v_fma_f32 v118, v42, v16, -v25
	v_mul_f32_e32 v25, v67, v19
	v_mul_f32_e32 v67, v88, v9
	s_delay_alu instid0(VALU_DEP_2) | instskip(SKIP_1) | instid1(VALU_DEP_3)
	v_fma_f32 v121, v66, v18, -v25
	v_mul_f32_e32 v25, v89, v9
	v_fmac_f32_e32 v67, v89, v8
	s_delay_alu instid0(VALU_DEP_2) | instskip(SKIP_1) | instid1(VALU_DEP_1)
	v_fma_f32 v66, v88, v8, -v25
	v_mul_u32_u24_e32 v25, 0xcccd, v116
	v_lshrrev_b32_e32 v106, 19, v25
	s_delay_alu instid0(VALU_DEP_1) | instskip(NEXT) | instid1(VALU_DEP_1)
	v_mul_lo_u16 v25, v106, 10
	v_sub_nc_u16 v107, v144, v25
	s_delay_alu instid0(VALU_DEP_1) | instskip(NEXT) | instid1(VALU_DEP_1)
	v_mul_lo_u16 v25, v107, 40
	v_and_b32_e32 v25, 0xffff, v25
	s_delay_alu instid0(VALU_DEP_1)
	v_add_co_u32 v25, s8, s6, v25
	s_wait_alu 0xf1ff
	v_add_co_ci_u32_e64 v26, null, s7, 0, s8
	s_clause 0x2
	global_load_b64 v[8:9], v[25:26], off offset:32
	global_load_b128 v[32:35], v[25:26], off offset:16
	global_load_b128 v[40:43], v[25:26], off
	v_mov_b32_e32 v26, v235
	s_wait_loadcnt_dscnt 0x200
	v_mul_f32_e32 v132, v44, v9
	s_wait_loadcnt 0x1
	v_mul_f32_e32 v126, v54, v33
	s_wait_loadcnt 0x0
	v_dual_mul_f32 v25, v63, v41 :: v_dual_mul_f32 v130, v68, v35
	scratch_store_b64 off, v[8:9], off offset:336 ; 8-byte Folded Spill
	v_fmac_f32_e32 v132, v45, v8
	v_fmac_f32_e32 v126, v55, v32
	v_fma_f32 v123, v62, v40, -v25
	v_mul_f32_e32 v25, v93, v43
	v_fmac_f32_e32 v130, v69, v34
	v_mul_f32_e32 v128, v92, v43
	v_mul_f32_e32 v124, v62, v41
	s_delay_alu instid0(VALU_DEP_4) | instskip(NEXT) | instid1(VALU_DEP_3)
	v_fma_f32 v127, v92, v42, -v25
	v_dual_mul_f32 v25, v55, v33 :: v_dual_fmac_f32 v128, v93, v42
	s_delay_alu instid0(VALU_DEP_3) | instskip(NEXT) | instid1(VALU_DEP_2)
	v_fmac_f32_e32 v124, v63, v40
	v_fma_f32 v125, v54, v32, -v25
	v_mul_f32_e32 v25, v69, v35
	s_delay_alu instid0(VALU_DEP_1) | instskip(SKIP_1) | instid1(VALU_DEP_1)
	v_fma_f32 v129, v68, v34, -v25
	v_mul_f32_e32 v25, v45, v9
	v_fma_f32 v131, v44, v8, -v25
	v_mul_u32_u24_e32 v25, 0xcccd, v154
	s_delay_alu instid0(VALU_DEP_1) | instskip(NEXT) | instid1(VALU_DEP_1)
	v_lshrrev_b32_e32 v108, 19, v25
	v_mul_lo_u16 v25, v108, 10
	s_delay_alu instid0(VALU_DEP_1) | instskip(NEXT) | instid1(VALU_DEP_1)
	v_sub_nc_u16 v109, v154, v25
	v_mul_lo_u16 v25, v109, 40
	s_delay_alu instid0(VALU_DEP_1) | instskip(NEXT) | instid1(VALU_DEP_1)
	v_and_b32_e32 v25, 0xffff, v25
	v_add_co_u32 v44, s8, s6, v25
	s_wait_alu 0xf1ff
	v_add_co_ci_u32_e64 v45, null, s7, 0, s8
	s_clause 0x2
	global_load_b64 v[8:9], v[44:45], off offset:32
	global_load_b128 v[52:55], v[44:45], off offset:16
	global_load_b128 v[68:71], v[44:45], off
	v_add_f32_e32 v45, v78, v82
	s_wait_loadcnt 0x2
	v_dual_mul_f32 v152, v46, v9 :: v_dual_add_nc_u32 v25, 0xc00, v24
	s_wait_loadcnt 0x1
	v_mul_f32_e32 v150, v48, v55
	s_wait_loadcnt 0x0
	v_mul_f32_e32 v44, v65, v69
	v_mul_f32_e32 v138, v56, v53
	;; [unrolled: 1-line block ×3, first 2 shown]
	v_fmac_f32_e32 v152, v47, v8
	v_fmac_f32_e32 v150, v49, v54
	v_fma_f32 v133, v64, v68, -v44
	v_mul_f32_e32 v44, v59, v71
	v_fmac_f32_e32 v138, v57, v52
	v_mul_f32_e32 v134, v64, v69
	v_fmac_f32_e32 v136, v59, v70
	scratch_store_b64 off, v[8:9], off offset:520 ; 8-byte Folded Spill
	v_fma_f32 v135, v58, v70, -v44
	v_mul_f32_e32 v44, v57, v53
	v_add_f32_e32 v57, v73, v61
	v_fmac_f32_e32 v134, v65, v68
	global_wb scope:SCOPE_SE
	s_wait_storecnt 0x0
	s_barrier_signal -1
	v_fma_f32 v137, v56, v52, -v44
	v_dual_mul_f32 v44, v49, v55 :: v_dual_add_f32 v49, v3, v60
	s_barrier_wait -1
	global_inv scope:SCOPE_SE
	v_fma_f32 v139, v48, v54, -v44
	v_mul_f32_e32 v44, v47, v9
	v_add_f32_e32 v47, v81, v85
	v_mov_b32_e32 v9, v245
	s_delay_alu instid0(VALU_DEP_3) | instskip(SKIP_4) | instid1(VALU_DEP_4)
	v_fma_f32 v151, v46, v8, -v44
	v_add_f32_e32 v44, v36, v78
	v_fma_f32 v36, -0.5, v45, v36
	v_sub_f32_e32 v45, v81, v85
	v_add_lshl_u32 v8, v100, v101, 3
	v_add_f32_e32 v44, v44, v82
	s_delay_alu instid0(VALU_DEP_3)
	v_fmamk_f32 v46, v45, 0x3f5db3d7, v36
	v_fmac_f32_e32 v36, 0xbf5db3d7, v45
	v_add_f32_e32 v45, v37, v81
	v_fma_f32 v37, -0.5, v47, v37
	v_sub_f32_e32 v47, v78, v82
	scratch_store_b32 off, v8, off offset:400 ; 4-byte Folded Spill
	v_dual_add_f32 v45, v45, v85 :: v_dual_fmamk_f32 v48, v47, 0xbf5db3d7, v37
	v_fmac_f32_e32 v37, 0x3f5db3d7, v47
	v_dual_add_f32 v47, v72, v3 :: v_dual_fmac_f32 v72, -0.5, v49
	v_sub_f32_e32 v49, v73, v61
	v_sub_f32_e32 v3, v3, v60
	s_delay_alu instid0(VALU_DEP_2) | instskip(SKIP_3) | instid1(VALU_DEP_4)
	v_dual_add_f32 v47, v47, v60 :: v_dual_fmamk_f32 v56, v49, 0x3f5db3d7, v72
	v_fmac_f32_e32 v72, 0xbf5db3d7, v49
	v_add_f32_e32 v49, v2, v73
	v_fmac_f32_e32 v2, -0.5, v57
	v_add_f32_e32 v88, v44, v47
	v_sub_f32_e32 v98, v44, v47
	s_delay_alu instid0(VALU_DEP_4) | instskip(NEXT) | instid1(VALU_DEP_4)
	v_dual_mul_f32 v58, -0.5, v72 :: v_dual_add_f32 v49, v49, v61
	v_fmamk_f32 v57, v3, 0xbf5db3d7, v2
	v_dual_fmac_f32 v2, 0x3f5db3d7, v3 :: v_dual_add_f32 v47, v75, v80
	s_delay_alu instid0(VALU_DEP_3) | instskip(NEXT) | instid1(VALU_DEP_2)
	v_add_f32_e32 v89, v45, v49
	v_dual_mul_f32 v3, 0x3f5db3d7, v57 :: v_dual_fmac_f32 v58, 0x3f5db3d7, v2
	v_dual_mul_f32 v2, -0.5, v2 :: v_dual_sub_f32 v99, v45, v49
	v_add_f32_e32 v45, v74, v79
	s_delay_alu instid0(VALU_DEP_3) | instskip(NEXT) | instid1(VALU_DEP_3)
	v_dual_fmac_f32 v3, 0.5, v56 :: v_dual_add_f32 v90, v36, v58
	v_fmac_f32_e32 v2, 0xbf5db3d7, v72
	v_sub_f32_e32 v96, v36, v58
	v_sub_f32_e32 v36, v77, v84
	s_delay_alu instid0(VALU_DEP_4)
	v_add_f32_e32 v92, v46, v3
	v_sub_f32_e32 v94, v46, v3
	v_add_f32_e32 v3, v76, v83
	v_add_f32_e32 v91, v37, v2
	v_dual_sub_f32 v97, v37, v2 :: v_dual_add_f32 v2, v38, v76
	v_mul_f32_e32 v56, 0xbf5db3d7, v56
	s_delay_alu instid0(VALU_DEP_4) | instskip(SKIP_1) | instid1(VALU_DEP_4)
	v_fma_f32 v3, -0.5, v3, v38
	v_add_f32_e32 v38, v77, v84
	v_add_f32_e32 v2, v2, v83
	s_delay_alu instid0(VALU_DEP_3) | instskip(SKIP_1) | instid1(VALU_DEP_4)
	v_dual_fmac_f32 v56, 0.5, v57 :: v_dual_fmamk_f32 v37, v36, 0x3f5db3d7, v3
	v_dual_fmac_f32 v3, 0xbf5db3d7, v36 :: v_dual_add_f32 v36, v39, v77
	v_dual_fmac_f32 v39, -0.5, v38 :: v_dual_sub_f32 v38, v76, v83
	s_delay_alu instid0(VALU_DEP_3) | instskip(SKIP_1) | instid1(VALU_DEP_4)
	v_add_f32_e32 v93, v48, v56
	v_sub_f32_e32 v95, v48, v56
	v_add_f32_e32 v36, v36, v84
	ds_store_2addr_b64 v8, v[88:89], v[92:93] offset1:10
	ds_store_2addr_b64 v8, v[90:91], v[98:99] offset0:20 offset1:30
	ds_store_2addr_b64 v8, v[94:95], v[96:97] offset0:40 offset1:50
	v_fmamk_f32 v44, v38, 0xbf5db3d7, v39
	v_fmac_f32_e32 v39, 0x3f5db3d7, v38
	v_add_f32_e32 v38, v50, v74
	v_dual_fmac_f32 v50, -0.5, v45 :: v_dual_sub_f32 v45, v75, v80
	v_and_b32_e32 v88, 0xffff, v102
	s_delay_alu instid0(VALU_DEP_3) | instskip(NEXT) | instid1(VALU_DEP_3)
	v_add_f32_e32 v38, v38, v79
	v_fmamk_f32 v46, v45, 0x3f5db3d7, v50
	v_dual_fmac_f32 v50, 0xbf5db3d7, v45 :: v_dual_add_f32 v45, v51, v75
	v_fmac_f32_e32 v51, -0.5, v47
	v_sub_f32_e32 v47, v74, v79
	v_add_f32_e32 v82, v2, v38
	s_delay_alu instid0(VALU_DEP_4) | instskip(SKIP_1) | instid1(VALU_DEP_4)
	v_mul_f32_e32 v49, -0.5, v50
	v_dual_add_f32 v45, v45, v80 :: v_dual_sub_f32 v84, v2, v38
	v_fmamk_f32 v48, v47, 0xbf5db3d7, v51
	v_dual_fmac_f32 v51, 0x3f5db3d7, v47 :: v_dual_add_f32 v2, v4, v117
	s_delay_alu instid0(VALU_DEP_3) | instskip(SKIP_1) | instid1(VALU_DEP_4)
	v_add_f32_e32 v83, v36, v45
	v_sub_f32_e32 v85, v36, v45
	v_mul_f32_e32 v47, 0x3f5db3d7, v48
	s_delay_alu instid0(VALU_DEP_4) | instskip(SKIP_2) | instid1(VALU_DEP_4)
	v_fmac_f32_e32 v49, 0x3f5db3d7, v51
	v_dual_add_f32 v45, v120, v67 :: v_dual_add_f32 v2, v2, v121
	v_mul_u32_u24_e32 v88, 60, v88
	v_fmac_f32_e32 v47, 0.5, v46
	v_mul_f32_e32 v46, 0xbf5db3d7, v46
	v_add_f32_e32 v76, v3, v49
	v_sub_f32_e32 v80, v3, v49
	v_add_f32_e32 v3, v117, v121
	v_add_f32_e32 v86, v37, v47
	v_fmac_f32_e32 v46, 0.5, v48
	v_mul_f32_e32 v48, -0.5, v51
	v_sub_f32_e32 v78, v37, v47
	v_fma_f32 v3, -0.5, v3, v4
	v_sub_f32_e32 v4, v119, v122
	v_add_f32_e32 v37, v119, v122
	v_fmac_f32_e32 v48, 0xbf5db3d7, v50
	v_add_f32_e32 v87, v44, v46
	v_sub_f32_e32 v79, v44, v46
	v_fmamk_f32 v36, v4, 0x3f5db3d7, v3
	v_fmac_f32_e32 v3, 0xbf5db3d7, v4
	v_add_f32_e32 v77, v39, v48
	v_dual_sub_f32 v81, v39, v48 :: v_dual_add_f32 v4, v5, v119
	v_fma_f32 v5, -0.5, v37, v5
	v_sub_f32_e32 v37, v117, v121
	v_add_f32_e32 v39, v118, v66
	v_add_lshl_u32 v8, v88, v103, 3
	v_add_f32_e32 v4, v4, v122
	s_delay_alu instid0(VALU_DEP_4)
	v_fmamk_f32 v38, v37, 0xbf5db3d7, v5
	v_fmac_f32_e32 v5, 0x3f5db3d7, v37
	v_dual_add_f32 v37, v110, v118 :: v_dual_fmac_f32 v110, -0.5, v39
	v_sub_f32_e32 v39, v120, v67
	scratch_store_b32 off, v8, off offset:368 ; 4-byte Folded Spill
	ds_store_2addr_b64 v8, v[82:83], v[86:87] offset1:10
	ds_store_2addr_b64 v8, v[76:77], v[84:85] offset0:20 offset1:30
	ds_store_2addr_b64 v8, v[78:79], v[80:81] offset0:40 offset1:50
	v_add_f32_e32 v37, v37, v66
	v_mad_u16 v76, v104, 60, v105
	v_fmamk_f32 v44, v39, 0x3f5db3d7, v110
	v_dual_fmac_f32 v110, 0xbf5db3d7, v39 :: v_dual_add_f32 v39, v111, v120
	v_fmac_f32_e32 v111, -0.5, v45
	v_sub_f32_e32 v45, v118, v66
	s_delay_alu instid0(VALU_DEP_3) | instskip(NEXT) | instid1(VALU_DEP_4)
	v_dual_add_f32 v66, v2, v37 :: v_dual_mul_f32 v47, -0.5, v110
	v_dual_add_f32 v39, v39, v67 :: v_dual_sub_f32 v72, v2, v37
	s_delay_alu instid0(VALU_DEP_3) | instskip(SKIP_1) | instid1(VALU_DEP_3)
	v_fmamk_f32 v46, v45, 0xbf5db3d7, v111
	v_dual_fmac_f32 v111, 0x3f5db3d7, v45 :: v_dual_add_f32 v2, v6, v127
	v_add_f32_e32 v67, v4, v39
	v_sub_f32_e32 v73, v4, v39
	s_delay_alu instid0(VALU_DEP_4) | instskip(NEXT) | instid1(VALU_DEP_4)
	v_mul_f32_e32 v45, 0x3f5db3d7, v46
	v_dual_fmac_f32 v47, 0x3f5db3d7, v111 :: v_dual_sub_f32 v4, v128, v130
	v_add_f32_e32 v37, v125, v131
	v_add_f32_e32 v39, v126, v132
	s_delay_alu instid0(VALU_DEP_4)
	v_fmac_f32_e32 v45, 0.5, v44
	v_mul_f32_e32 v44, 0xbf5db3d7, v44
	v_add_f32_e32 v60, v3, v47
	v_sub_f32_e32 v64, v3, v47
	v_add_f32_e32 v3, v127, v129
	v_add_f32_e32 v74, v36, v45
	v_fmac_f32_e32 v44, 0.5, v46
	v_mul_f32_e32 v46, -0.5, v111
	v_sub_f32_e32 v62, v36, v45
	v_fma_f32 v3, -0.5, v3, v6
	s_delay_alu instid0(VALU_DEP_4) | instskip(NEXT) | instid1(VALU_DEP_4)
	v_dual_add_f32 v6, v128, v130 :: v_dual_add_f32 v75, v38, v44
	v_dual_fmac_f32 v46, 0xbf5db3d7, v110 :: v_dual_sub_f32 v63, v38, v44
	v_add_f32_e32 v2, v2, v129
	s_delay_alu instid0(VALU_DEP_2)
	v_dual_add_f32 v61, v5, v46 :: v_dual_and_b32 v76, 0xffff, v76
	v_sub_f32_e32 v65, v5, v46
	v_fmamk_f32 v5, v4, 0x3f5db3d7, v3
	v_fmac_f32_e32 v3, 0xbf5db3d7, v4
	v_dual_add_f32 v4, v7, v128 :: v_dual_fmac_f32 v7, -0.5, v6
	v_sub_f32_e32 v6, v127, v129
	v_lshlrev_b32_e32 v8, 3, v76
	s_delay_alu instid0(VALU_DEP_3) | instskip(NEXT) | instid1(VALU_DEP_3)
	v_add_f32_e32 v4, v4, v130
	v_fmamk_f32 v36, v6, 0xbf5db3d7, v7
	v_dual_fmac_f32 v7, 0x3f5db3d7, v6 :: v_dual_add_f32 v6, v123, v125
	v_fmac_f32_e32 v123, -0.5, v37
	v_sub_f32_e32 v37, v126, v132
	scratch_store_b32 off, v8, off offset:344 ; 4-byte Folded Spill
	ds_store_2addr_b64 v8, v[66:67], v[74:75] offset1:10
	ds_store_2addr_b64 v8, v[60:61], v[72:73] offset0:20 offset1:30
	ds_store_2addr_b64 v8, v[62:63], v[64:65] offset0:40 offset1:50
	v_add_f32_e32 v6, v6, v131
	v_mad_u16 v60, v106, 60, v107
	v_fmamk_f32 v38, v37, 0x3f5db3d7, v123
	v_fmac_f32_e32 v123, 0xbf5db3d7, v37
	v_dual_add_f32 v37, v124, v126 :: v_dual_fmac_f32 v124, -0.5, v39
	v_dual_sub_f32 v39, v125, v131 :: v_dual_add_f32 v50, v2, v6
	s_delay_alu instid0(VALU_DEP_2) | instskip(NEXT) | instid1(VALU_DEP_2)
	v_dual_sub_f32 v56, v2, v6 :: v_dual_add_f32 v37, v37, v132
	v_dual_add_f32 v2, v0, v135 :: v_dual_fmamk_f32 v45, v39, 0xbf5db3d7, v124
	v_fmac_f32_e32 v124, 0x3f5db3d7, v39
	v_mul_f32_e32 v47, -0.5, v123
	s_delay_alu instid0(VALU_DEP_4) | instskip(SKIP_2) | instid1(VALU_DEP_4)
	v_add_f32_e32 v51, v4, v37
	v_sub_f32_e32 v57, v4, v37
	v_dual_mul_f32 v39, 0x3f5db3d7, v45 :: v_dual_add_f32 v4, v2, v139
	v_dual_add_f32 v2, v135, v139 :: v_dual_fmac_f32 v47, 0x3f5db3d7, v124
	v_mul_f32_e32 v49, -0.5, v124
	s_delay_alu instid0(VALU_DEP_3) | instskip(SKIP_1) | instid1(VALU_DEP_4)
	v_fmac_f32_e32 v39, 0.5, v38
	v_mul_f32_e32 v38, 0xbf5db3d7, v38
	v_fma_f32 v0, -0.5, v2, v0
	v_sub_f32_e32 v2, v136, v150
	v_add_f32_e32 v44, v3, v47
	v_add_f32_e32 v58, v5, v39
	v_sub_f32_e32 v46, v5, v39
	v_fmac_f32_e32 v38, 0.5, v45
	v_fmamk_f32 v5, v2, 0x3f5db3d7, v0
	v_fmac_f32_e32 v0, 0xbf5db3d7, v2
	v_add_f32_e32 v2, v1, v136
	s_delay_alu instid0(VALU_DEP_4) | instskip(SKIP_1) | instid1(VALU_DEP_3)
	v_dual_sub_f32 v48, v3, v47 :: v_dual_add_f32 v59, v36, v38
	v_dual_sub_f32 v47, v36, v38 :: v_dual_and_b32 v60, 0xffff, v60
	v_add_f32_e32 v37, v2, v150
	v_dual_add_f32 v2, v136, v150 :: v_dual_fmac_f32 v49, 0xbf5db3d7, v123
	s_delay_alu instid0(VALU_DEP_1) | instskip(SKIP_1) | instid1(VALU_DEP_3)
	v_dual_fmac_f32 v1, -0.5, v2 :: v_dual_lshlrev_b32 v8, 3, v60
	v_sub_f32_e32 v2, v135, v139
	v_add_f32_e32 v45, v7, v49
	v_sub_f32_e32 v49, v7, v49
	scratch_store_b32 off, v8, off offset:332 ; 4-byte Folded Spill
	ds_store_2addr_b64 v8, v[50:51], v[58:59] offset1:10
	ds_store_2addr_b64 v8, v[44:45], v[56:57] offset0:20 offset1:30
	ds_store_2addr_b64 v8, v[46:47], v[48:49] offset0:40 offset1:50
	v_fmamk_f32 v110, v2, 0xbf5db3d7, v1
	v_dual_fmac_f32 v1, 0x3f5db3d7, v2 :: v_dual_add_f32 v2, v133, v137
	v_mad_u16 v44, v108, 60, v109
	s_delay_alu instid0(VALU_DEP_2) | instskip(SKIP_1) | instid1(VALU_DEP_3)
	v_add_f32_e32 v36, v2, v151
	v_add_f32_e32 v2, v137, v151
	v_and_b32_e32 v44, 0xffff, v44
	s_delay_alu instid0(VALU_DEP_2) | instskip(SKIP_1) | instid1(VALU_DEP_3)
	v_dual_add_f32 v6, v4, v36 :: v_dual_fmac_f32 v133, -0.5, v2
	v_sub_f32_e32 v2, v138, v152
	v_lshlrev_b32_e32 v8, 3, v44
	s_delay_alu instid0(VALU_DEP_2)
	v_dual_sub_f32 v36, v4, v36 :: v_dual_fmamk_f32 v3, v2, 0x3f5db3d7, v133
	v_fmac_f32_e32 v133, 0xbf5db3d7, v2
	v_add_f32_e32 v2, v134, v138
	scratch_store_b32 off, v8, off offset:312 ; 4-byte Folded Spill
	v_dual_mul_f32 v119, 0xbf5db3d7, v3 :: v_dual_mul_f32 v118, -0.5, v133
	v_add_f32_e32 v111, v2, v152
	s_delay_alu instid0(VALU_DEP_1) | instskip(NEXT) | instid1(VALU_DEP_1)
	v_dual_add_f32 v2, v138, v152 :: v_dual_add_f32 v7, v37, v111
	v_fmac_f32_e32 v134, -0.5, v2
	v_sub_f32_e32 v2, v137, v151
	v_sub_f32_e32 v37, v37, v111
	s_delay_alu instid0(VALU_DEP_2) | instskip(NEXT) | instid1(VALU_DEP_1)
	v_fmamk_f32 v39, v2, 0xbf5db3d7, v134
	v_dual_fmac_f32 v134, 0x3f5db3d7, v2 :: v_dual_mul_f32 v117, 0x3f5db3d7, v39
	s_delay_alu instid0(VALU_DEP_1) | instskip(NEXT) | instid1(VALU_DEP_2)
	v_dual_mul_f32 v120, -0.5, v134 :: v_dual_fmac_f32 v119, 0.5, v39
	v_dual_fmac_f32 v118, 0x3f5db3d7, v134 :: v_dual_fmac_f32 v117, 0.5, v3
	s_delay_alu instid0(VALU_DEP_2) | instskip(NEXT) | instid1(VALU_DEP_2)
	v_dual_fmac_f32 v120, 0xbf5db3d7, v133 :: v_dual_add_f32 v39, v110, v119
	v_add_f32_e32 v2, v0, v118
	v_sub_f32_e32 v0, v0, v118
	s_delay_alu instid0(VALU_DEP_4) | instskip(NEXT) | instid1(VALU_DEP_4)
	v_add_f32_e32 v38, v5, v117
	v_add_f32_e32 v3, v1, v120
	v_dual_sub_f32 v4, v5, v117 :: v_dual_sub_f32 v5, v110, v119
	v_sub_f32_e32 v1, v1, v120
	ds_store_2addr_b64 v8, v[6:7], v[38:39] offset1:10
	ds_store_2addr_b64 v8, v[2:3], v[36:37] offset0:20 offset1:30
	ds_store_2addr_b64 v8, v[4:5], v[0:1] offset0:40 offset1:50
	v_subrev_nc_u32_e32 v0, 60, v153
	global_wb scope:SCOPE_SE
	s_wait_storecnt_dscnt 0x0
	s_barrier_signal -1
	s_barrier_wait -1
	global_inv scope:SCOPE_SE
	s_wait_alu 0xfffd
	v_cndmask_b32_e32 v156, v0, v153, vcc_lo
	ds_load_2addr_b64 v[88:91], v24 offset1:96
	ds_load_2addr_b64 v[80:83], v234 offset0:128 offset1:224
	ds_load_2addr_b64 v[36:39], v201 offset0:64 offset1:160
	;; [unrolled: 1-line block ×4, first 2 shown]
	ds_load_2addr_b64 v[96:99], v244 offset1:96
	ds_load_2addr_b64 v[56:59], v213 offset0:64 offset1:160
	ds_load_2addr_b64 v[64:67], v235 offset1:96
	ds_load_2addr_b64 v[72:75], v215 offset0:64 offset1:160
	ds_load_2addr_b64 v[84:87], v245 offset0:64 offset1:160
	;; [unrolled: 1-line block ×4, first 2 shown]
	ds_load_2addr_b64 v[108:111], v199 offset1:96
	ds_load_2addr_b64 v[100:103], v214 offset0:64 offset1:160
	ds_load_2addr_b64 v[92:95], v233 offset0:128 offset1:224
	v_mov_b32_e32 v2, v153
	v_mul_i32_i24_e32 v1, 40, v156
	v_mul_hi_i32_i24_e32 v0, 40, v156
	s_delay_alu instid0(VALU_DEP_2) | instskip(SKIP_1) | instid1(VALU_DEP_2)
	v_add_co_u32 v4, vcc_lo, s6, v1
	s_wait_alu 0xfffd
	v_add_co_ci_u32_e32 v5, vcc_lo, s7, v0, vcc_lo
	s_clause 0x2
	global_load_b64 v[0:1], v[4:5], off offset:432
	global_load_b128 v[206:209], v[4:5], off offset:416
	global_load_b128 v[202:205], v[4:5], off offset:400
	v_cmp_lt_u16_e64 vcc_lo, 59, v140
	s_wait_loadcnt 0x2
	scratch_store_b64 off, v[0:1], off offset:292 ; 8-byte Folded Spill
	s_wait_loadcnt_dscnt 0x10b
	v_mul_f32_e32 v118, v106, v207
	s_wait_loadcnt 0x0
	v_mul_f32_e32 v48, v83, v203
	v_mul_f32_e32 v120, v36, v205
	s_wait_dscnt 0xa
	v_dual_mul_f32 v121, v44, v209 :: v_dual_fmac_f32 v118, v107, v206
	s_delay_alu instid0(VALU_DEP_3) | instskip(SKIP_4) | instid1(VALU_DEP_4)
	v_fma_f32 v117, v82, v202, -v48
	v_mul_f32_e32 v48, v37, v205
	v_mul_f32_e32 v82, v82, v203
	v_fmac_f32_e32 v120, v37, v204
	v_fmac_f32_e32 v121, v45, v208
	v_fma_f32 v119, v36, v204, -v48
	v_mul_f32_e32 v36, v107, v207
	v_fmac_f32_e32 v82, v83, v202
	s_delay_alu instid0(VALU_DEP_2) | instskip(SKIP_1) | instid1(VALU_DEP_1)
	v_fma_f32 v83, v106, v206, -v36
	v_mul_f32_e32 v36, v45, v209
	v_fma_f32 v107, v44, v208, -v36
	s_wait_dscnt 0x9
	v_mul_f32_e32 v36, v99, v1
	s_delay_alu instid0(VALU_DEP_1) | instskip(SKIP_2) | instid1(VALU_DEP_2)
	v_fma_f32 v106, v98, v0, -v36
	v_mul_lo_u16 v36, 0x89, v114
	v_mul_f32_e32 v98, v98, v1
	v_lshrrev_b16 v157, 13, v36
	s_delay_alu instid0(VALU_DEP_2) | instskip(NEXT) | instid1(VALU_DEP_2)
	v_fmac_f32_e32 v98, v99, v0
	v_mul_lo_u16 v36, v157, 60
	s_delay_alu instid0(VALU_DEP_1) | instskip(NEXT) | instid1(VALU_DEP_1)
	v_sub_nc_u16 v36, v112, v36
	v_and_b32_e32 v158, 0xff, v36
	s_delay_alu instid0(VALU_DEP_1)
	v_mad_co_u64_u32 v[36:37], null, v158, 40, s[6:7]
	s_clause 0x2
	global_load_b64 v[0:1], v[36:37], off offset:432
	global_load_b128 v[48:51], v[36:37], off offset:416
	global_load_b128 v[60:63], v[36:37], off offset:400
	s_wait_loadcnt_dscnt 0x206
	v_mul_f32_e32 v126, v72, v1
	s_wait_loadcnt 0x1
	v_mul_f32_e32 v164, v46, v51
	s_wait_loadcnt 0x0
	v_mul_f32_e32 v36, v57, v61
	v_mul_f32_e32 v124, v38, v63
	scratch_store_b64 off, v[0:1], off offset:324 ; 8-byte Folded Spill
	v_fmac_f32_e32 v126, v73, v0
	v_fmac_f32_e32 v164, v47, v50
	v_fma_f32 v99, v56, v60, -v36
	v_mul_f32_e32 v36, v39, v63
	v_fmac_f32_e32 v124, v39, v62
	v_mul_f32_e32 v112, v56, v61
	v_mul_f32_e32 v122, v64, v49
	s_delay_alu instid0(VALU_DEP_4) | instskip(SKIP_1) | instid1(VALU_DEP_4)
	v_fma_f32 v123, v38, v62, -v36
	v_mul_f32_e32 v36, v65, v49
	v_fmac_f32_e32 v112, v57, v60
	s_delay_alu instid0(VALU_DEP_4) | instskip(NEXT) | instid1(VALU_DEP_3)
	v_fmac_f32_e32 v122, v65, v48
	v_fma_f32 v114, v64, v48, -v36
	v_mul_f32_e32 v36, v47, v51
	s_delay_alu instid0(VALU_DEP_1) | instskip(SKIP_1) | instid1(VALU_DEP_1)
	v_fma_f32 v127, v46, v50, -v36
	v_mul_f32_e32 v36, v73, v1
	v_fma_f32 v125, v72, v0, -v36
	v_mul_u32_u24_e32 v36, 0x8889, v115
	s_delay_alu instid0(VALU_DEP_1) | instskip(NEXT) | instid1(VALU_DEP_1)
	v_lshrrev_b32_e32 v150, 21, v36
	v_mul_lo_u16 v36, v150, 60
	s_delay_alu instid0(VALU_DEP_1) | instskip(NEXT) | instid1(VALU_DEP_1)
	v_sub_nc_u16 v151, v113, v36
	v_mul_lo_u16 v36, v151, 40
	s_delay_alu instid0(VALU_DEP_1) | instskip(NEXT) | instid1(VALU_DEP_1)
	v_and_b32_e32 v36, 0xffff, v36
	v_add_co_u32 v44, s8, s6, v36
	s_wait_alu 0xf1ff
	v_add_co_ci_u32_e64 v45, null, s7, 0, s8
	s_clause 0x2
	global_load_b64 v[0:1], v[44:45], off offset:432
	global_load_b128 v[36:39], v[44:45], off offset:416
	global_load_b128 v[44:47], v[44:45], off offset:400
	s_wait_loadcnt 0x2
	v_mul_f32_e32 v173, v74, v1
	s_wait_loadcnt 0x1
	v_mul_f32_e32 v167, v66, v37
	;; [unrolled: 2-line block ×3, first 2 shown]
	v_mul_f32_e32 v159, v58, v45
	scratch_store_b64 off, v[0:1], off offset:348 ; 8-byte Folded Spill
	v_fmac_f32_e32 v173, v75, v0
	v_fmac_f32_e32 v167, v67, v36
	v_fma_f32 v113, v58, v44, -v56
	s_wait_dscnt 0x4
	v_dual_mul_f32 v56, v77, v47 :: v_dual_fmac_f32 v159, v59, v44
	v_mul_f32_e32 v166, v76, v47
	s_wait_dscnt 0x3
	v_mul_f32_e32 v172, v128, v39
	s_delay_alu instid0(VALU_DEP_3) | instskip(SKIP_2) | instid1(VALU_DEP_4)
	v_fma_f32 v115, v76, v46, -v56
	v_mul_f32_e32 v56, v67, v37
	v_fmac_f32_e32 v166, v77, v46
	v_fmac_f32_e32 v172, v129, v38
	s_delay_alu instid0(VALU_DEP_3) | instskip(SKIP_1) | instid1(VALU_DEP_1)
	v_fma_f32 v165, v66, v36, -v56
	v_mul_f32_e32 v56, v129, v39
	v_fma_f32 v169, v128, v38, -v56
	v_mul_f32_e32 v56, v75, v1
	s_delay_alu instid0(VALU_DEP_1) | instskip(SKIP_1) | instid1(VALU_DEP_1)
	v_fma_f32 v170, v74, v0, -v56
	v_mul_u32_u24_e32 v56, 0x8889, v116
	v_lshrrev_b32_e32 v152, 21, v56
	s_delay_alu instid0(VALU_DEP_1) | instskip(NEXT) | instid1(VALU_DEP_1)
	v_mul_lo_u16 v56, v152, 60
	v_sub_nc_u16 v153, v144, v56
	s_delay_alu instid0(VALU_DEP_1) | instskip(NEXT) | instid1(VALU_DEP_1)
	v_mul_lo_u16 v56, v153, 40
	v_and_b32_e32 v56, 0xffff, v56
	s_delay_alu instid0(VALU_DEP_1)
	v_add_co_u32 v64, s8, s6, v56
	s_wait_alu 0xf1ff
	v_add_co_ci_u32_e64 v65, null, s7, 0, s8
	s_clause 0x2
	global_load_b64 v[0:1], v[64:65], off offset:432
	global_load_b128 v[56:59], v[64:65], off offset:416
	global_load_b128 v[64:67], v[64:65], off offset:400
	s_wait_loadcnt 0x2
	scratch_store_b64 off, v[0:1], off offset:360 ; 8-byte Folded Spill
	s_wait_loadcnt_dscnt 0x2
	v_dual_mul_f32 v177, v130, v59 :: v_dual_mul_f32 v72, v109, v65
	v_mul_f32_e32 v175, v78, v67
	v_mul_f32_e32 v171, v108, v65
	s_delay_alu instid0(VALU_DEP_3) | instskip(NEXT) | instid1(VALU_DEP_4)
	v_fmac_f32_e32 v177, v131, v58
	v_fma_f32 v168, v108, v64, -v72
	v_mul_f32_e32 v72, v79, v67
	v_fmac_f32_e32 v175, v79, v66
	v_fmac_f32_e32 v171, v109, v64
	s_delay_alu instid0(VALU_DEP_3) | instskip(SKIP_2) | instid1(VALU_DEP_1)
	v_fma_f32 v174, v78, v66, -v72
	s_wait_dscnt 0x1
	v_mul_f32_e32 v72, v101, v57
	v_fma_f32 v176, v100, v56, -v72
	v_mul_f32_e32 v100, v100, v57
	v_mul_f32_e32 v72, v131, v59
	s_delay_alu instid0(VALU_DEP_2) | instskip(NEXT) | instid1(VALU_DEP_2)
	v_fmac_f32_e32 v100, v101, v56
	v_fma_f32 v101, v130, v58, -v72
	s_wait_dscnt 0x0
	v_mul_f32_e32 v72, v93, v1
	s_delay_alu instid0(VALU_DEP_1) | instskip(SKIP_1) | instid1(VALU_DEP_1)
	v_fma_f32 v178, v92, v0, -v72
	v_mul_f32_e32 v92, v92, v1
	v_fmac_f32_e32 v92, v93, v0
	v_mov_b32_e32 v0, v154
	s_delay_alu instid0(VALU_DEP_1) | instskip(SKIP_2) | instid1(VALU_DEP_1)
	v_mul_u32_u24_e32 v72, 0x8889, v0
	scratch_store_b32 off, v0, off offset:264 ; 4-byte Folded Spill
	v_lshrrev_b32_e32 v154, 21, v72
	v_mul_lo_u16 v72, v154, 60
	s_delay_alu instid0(VALU_DEP_1) | instskip(NEXT) | instid1(VALU_DEP_1)
	v_sub_nc_u16 v155, v0, v72
	v_mul_lo_u16 v72, v155, 40
	s_delay_alu instid0(VALU_DEP_1) | instskip(NEXT) | instid1(VALU_DEP_1)
	v_and_b32_e32 v72, 0xffff, v72
	v_add_co_u32 v76, s8, s6, v72
	s_wait_alu 0xf1ff
	v_add_co_ci_u32_e64 v77, null, s7, 0, s8
	s_clause 0x2
	global_load_b64 v[0:1], v[76:77], off offset:432
	global_load_b128 v[72:75], v[76:77], off offset:416
	global_load_b128 v[76:79], v[76:77], off offset:400
	s_wait_loadcnt 0x2
	v_mul_f32_e32 v188, v94, v1
	s_wait_loadcnt 0x0
	v_dual_mul_f32 v186, v96, v75 :: v_dual_mul_f32 v93, v111, v77
	v_mul_f32_e32 v184, v102, v73
	v_mul_f32_e32 v182, v104, v79
	v_fmac_f32_e32 v188, v95, v0
	s_delay_alu instid0(VALU_DEP_4)
	v_fmac_f32_e32 v186, v97, v74
	v_fma_f32 v179, v110, v76, -v93
	v_dual_mul_f32 v93, v105, v79 :: v_dual_fmac_f32 v184, v103, v72
	v_mul_f32_e32 v180, v110, v77
	v_fmac_f32_e32 v182, v105, v78
	scratch_store_b64 off, v[0:1], off offset:468 ; 8-byte Folded Spill
	v_fma_f32 v181, v104, v78, -v93
	v_mul_f32_e32 v93, v103, v73
	v_fmac_f32_e32 v180, v111, v76
	global_wb scope:SCOPE_SE
	s_wait_storecnt 0x0
	s_barrier_signal -1
	s_barrier_wait -1
	v_fma_f32 v183, v102, v72, -v93
	v_dual_mul_f32 v93, v97, v75 :: v_dual_add_f32 v102, v83, v106
	global_inv scope:SCOPE_SE
	v_fma_f32 v185, v96, v74, -v93
	v_mul_f32_e32 v93, v95, v1
	v_add_f32_e32 v96, v120, v121
	s_delay_alu instid0(VALU_DEP_2) | instskip(SKIP_2) | instid1(VALU_DEP_2)
	v_fma_f32 v187, v94, v0, -v93
	v_add_f32_e32 v94, v119, v107
	v_add_f32_e32 v93, v88, v119
	v_fma_f32 v88, -0.5, v94, v88
	s_delay_alu instid0(VALU_DEP_2) | instskip(NEXT) | instid1(VALU_DEP_1)
	v_dual_sub_f32 v94, v120, v121 :: v_dual_add_f32 v93, v93, v107
	v_fmamk_f32 v95, v94, 0x3f5db3d7, v88
	v_fmac_f32_e32 v88, 0xbf5db3d7, v94
	v_add_f32_e32 v94, v89, v120
	v_fma_f32 v89, -0.5, v96, v89
	v_sub_f32_e32 v96, v119, v107
	s_delay_alu instid0(VALU_DEP_1) | instskip(SKIP_4) | instid1(VALU_DEP_2)
	v_dual_add_f32 v94, v94, v121 :: v_dual_fmamk_f32 v97, v96, 0xbf5db3d7, v89
	v_dual_fmac_f32 v89, 0x3f5db3d7, v96 :: v_dual_add_f32 v96, v117, v83
	v_fmac_f32_e32 v117, -0.5, v102
	v_sub_f32_e32 v102, v118, v98
	v_sub_f32_e32 v83, v83, v106
	v_dual_add_f32 v96, v96, v106 :: v_dual_fmamk_f32 v103, v102, 0x3f5db3d7, v117
	v_fmac_f32_e32 v117, 0xbf5db3d7, v102
	v_add_f32_e32 v102, v82, v118
	s_delay_alu instid0(VALU_DEP_3)
	v_add_f32_e32 v134, v93, v96
	v_sub_f32_e32 v136, v93, v96
	v_add_f32_e32 v96, v122, v126
	v_mul_f32_e32 v104, -0.5, v117
	v_add_f32_e32 v102, v102, v98
	v_add_f32_e32 v98, v118, v98
	s_delay_alu instid0(VALU_DEP_2) | instskip(NEXT) | instid1(VALU_DEP_2)
	v_add_f32_e32 v135, v94, v102
	v_fmac_f32_e32 v82, -0.5, v98
	v_sub_f32_e32 v137, v94, v102
	v_add_f32_e32 v94, v114, v125
	s_delay_alu instid0(VALU_DEP_3) | instskip(NEXT) | instid1(VALU_DEP_1)
	v_fmamk_f32 v98, v83, 0xbf5db3d7, v82
	v_dual_fmac_f32 v82, 0x3f5db3d7, v83 :: v_dual_mul_f32 v83, 0x3f5db3d7, v98
	s_delay_alu instid0(VALU_DEP_1) | instskip(NEXT) | instid1(VALU_DEP_2)
	v_fmac_f32_e32 v104, 0x3f5db3d7, v82
	v_dual_mul_f32 v82, -0.5, v82 :: v_dual_fmac_f32 v83, 0.5, v103
	s_delay_alu instid0(VALU_DEP_2) | instskip(NEXT) | instid1(VALU_DEP_2)
	v_add_f32_e32 v128, v88, v104
	v_fmac_f32_e32 v82, 0xbf5db3d7, v117
	v_sub_f32_e32 v132, v88, v104
	v_sub_f32_e32 v88, v124, v164
	v_add_f32_e32 v138, v95, v83
	v_sub_f32_e32 v130, v95, v83
	v_add_f32_e32 v83, v123, v127
	v_add_f32_e32 v129, v89, v82
	v_dual_sub_f32 v133, v89, v82 :: v_dual_add_f32 v82, v90, v123
	v_mul_f32_e32 v103, 0xbf5db3d7, v103
	s_delay_alu instid0(VALU_DEP_4) | instskip(SKIP_1) | instid1(VALU_DEP_3)
	v_fma_f32 v83, -0.5, v83, v90
	v_add_f32_e32 v90, v124, v164
	v_dual_add_f32 v82, v82, v127 :: v_dual_fmac_f32 v103, 0.5, v98
	s_delay_alu instid0(VALU_DEP_3) | instskip(SKIP_1) | instid1(VALU_DEP_4)
	v_fmamk_f32 v89, v88, 0x3f5db3d7, v83
	v_fmac_f32_e32 v83, 0xbf5db3d7, v88
	v_dual_add_f32 v88, v91, v124 :: v_dual_fmac_f32 v91, -0.5, v90
	v_sub_f32_e32 v90, v123, v127
	v_add_f32_e32 v139, v97, v103
	s_delay_alu instid0(VALU_DEP_3) | instskip(NEXT) | instid1(VALU_DEP_3)
	v_dual_sub_f32 v131, v97, v103 :: v_dual_add_f32 v88, v88, v164
	v_fmamk_f32 v93, v90, 0xbf5db3d7, v91
	v_fmac_f32_e32 v91, 0x3f5db3d7, v90
	v_add_f32_e32 v90, v99, v114
	v_fmac_f32_e32 v99, -0.5, v94
	v_sub_f32_e32 v94, v122, v126
	s_delay_alu instid0(VALU_DEP_3) | instskip(NEXT) | instid1(VALU_DEP_2)
	v_add_f32_e32 v90, v90, v125
	v_fmamk_f32 v95, v94, 0x3f5db3d7, v99
	v_fmac_f32_e32 v99, 0xbf5db3d7, v94
	v_add_f32_e32 v94, v112, v122
	v_fmac_f32_e32 v112, -0.5, v96
	v_sub_f32_e32 v96, v114, v125
	v_add_f32_e32 v122, v82, v90
	v_mul_f32_e32 v98, -0.5, v99
	v_add_f32_e32 v94, v94, v126
	s_delay_alu instid0(VALU_DEP_4) | instskip(SKIP_2) | instid1(VALU_DEP_4)
	v_dual_sub_f32 v124, v82, v90 :: v_dual_fmamk_f32 v97, v96, 0xbf5db3d7, v112
	v_fmac_f32_e32 v112, 0x3f5db3d7, v96
	v_add_f32_e32 v82, v84, v115
	v_add_f32_e32 v123, v88, v94
	s_delay_alu instid0(VALU_DEP_4) | instskip(NEXT) | instid1(VALU_DEP_4)
	v_dual_sub_f32 v125, v88, v94 :: v_dual_mul_f32 v96, 0x3f5db3d7, v97
	v_fmac_f32_e32 v98, 0x3f5db3d7, v112
	v_add_f32_e32 v94, v167, v173
	v_add_f32_e32 v82, v82, v169
	s_delay_alu instid0(VALU_DEP_4) | instskip(NEXT) | instid1(VALU_DEP_4)
	v_fmac_f32_e32 v96, 0.5, v95
	v_dual_mul_f32 v95, 0xbf5db3d7, v95 :: v_dual_add_f32 v116, v83, v98
	v_sub_f32_e32 v120, v83, v98
	s_delay_alu instid0(VALU_DEP_3) | instskip(NEXT) | instid1(VALU_DEP_3)
	v_dual_add_f32 v83, v115, v169 :: v_dual_add_f32 v126, v89, v96
	v_fmac_f32_e32 v95, 0.5, v97
	v_mul_f32_e32 v97, -0.5, v112
	v_sub_f32_e32 v118, v89, v96
	s_delay_alu instid0(VALU_DEP_4) | instskip(SKIP_4) | instid1(VALU_DEP_4)
	v_fma_f32 v83, -0.5, v83, v84
	v_sub_f32_e32 v84, v166, v172
	v_add_f32_e32 v89, v166, v172
	v_fmac_f32_e32 v97, 0xbf5db3d7, v99
	v_add_f32_e32 v127, v93, v95
	v_dual_sub_f32 v119, v93, v95 :: v_dual_fmamk_f32 v88, v84, 0x3f5db3d7, v83
	v_fmac_f32_e32 v83, 0xbf5db3d7, v84
	s_delay_alu instid0(VALU_DEP_4) | instskip(SKIP_3) | instid1(VALU_DEP_3)
	v_add_f32_e32 v117, v91, v97
	v_dual_sub_f32 v121, v91, v97 :: v_dual_add_f32 v84, v85, v166
	v_fma_f32 v85, -0.5, v89, v85
	v_sub_f32_e32 v89, v115, v169
	v_dual_add_f32 v91, v165, v170 :: v_dual_add_f32 v84, v84, v172
	s_delay_alu instid0(VALU_DEP_2) | instskip(SKIP_2) | instid1(VALU_DEP_4)
	v_fmamk_f32 v90, v89, 0xbf5db3d7, v85
	v_fmac_f32_e32 v85, 0x3f5db3d7, v89
	v_add_f32_e32 v89, v113, v165
	v_fmac_f32_e32 v113, -0.5, v91
	v_sub_f32_e32 v91, v167, v173
	s_delay_alu instid0(VALU_DEP_3) | instskip(NEXT) | instid1(VALU_DEP_2)
	v_add_f32_e32 v89, v89, v170
	v_fmamk_f32 v93, v91, 0x3f5db3d7, v113
	v_fmac_f32_e32 v113, 0xbf5db3d7, v91
	v_add_f32_e32 v91, v159, v167
	v_fmac_f32_e32 v159, -0.5, v94
	v_sub_f32_e32 v94, v165, v170
	v_add_f32_e32 v110, v82, v89
	v_mul_f32_e32 v96, -0.5, v113
	v_add_f32_e32 v91, v91, v173
	v_sub_f32_e32 v112, v82, v89
	v_fmamk_f32 v95, v94, 0xbf5db3d7, v159
	v_fmac_f32_e32 v159, 0x3f5db3d7, v94
	s_delay_alu instid0(VALU_DEP_4) | instskip(NEXT) | instid1(VALU_DEP_3)
	v_dual_add_f32 v82, v86, v174 :: v_dual_add_f32 v111, v84, v91
	v_dual_add_f32 v89, v176, v178 :: v_dual_mul_f32 v94, 0x3f5db3d7, v95
	s_delay_alu instid0(VALU_DEP_3) | instskip(NEXT) | instid1(VALU_DEP_3)
	v_fmac_f32_e32 v96, 0x3f5db3d7, v159
	v_add_f32_e32 v82, v82, v101
	s_delay_alu instid0(VALU_DEP_3) | instskip(NEXT) | instid1(VALU_DEP_3)
	v_fmac_f32_e32 v94, 0.5, v93
	v_dual_mul_f32 v93, 0xbf5db3d7, v93 :: v_dual_add_f32 v104, v83, v96
	v_dual_sub_f32 v108, v83, v96 :: v_dual_add_f32 v83, v174, v101
	s_delay_alu instid0(VALU_DEP_2) | instskip(SKIP_1) | instid1(VALU_DEP_3)
	v_dual_add_f32 v114, v88, v94 :: v_dual_fmac_f32 v93, 0.5, v95
	v_dual_mul_f32 v95, -0.5, v159 :: v_dual_sub_f32 v106, v88, v94
	v_fma_f32 v83, -0.5, v83, v86
	v_add_f32_e32 v86, v175, v177
	s_delay_alu instid0(VALU_DEP_4) | instskip(NEXT) | instid1(VALU_DEP_4)
	v_add_f32_e32 v115, v90, v93
	v_fmac_f32_e32 v95, 0xbf5db3d7, v113
	v_dual_sub_f32 v113, v84, v91 :: v_dual_sub_f32 v84, v175, v177
	v_add_f32_e32 v91, v100, v92
	v_sub_f32_e32 v107, v90, v93
	s_delay_alu instid0(VALU_DEP_4) | instskip(SKIP_4) | instid1(VALU_DEP_2)
	v_add_f32_e32 v105, v85, v95
	v_sub_f32_e32 v109, v85, v95
	v_fmamk_f32 v85, v84, 0x3f5db3d7, v83
	v_dual_fmac_f32 v83, 0xbf5db3d7, v84 :: v_dual_add_f32 v84, v87, v175
	v_dual_fmac_f32 v87, -0.5, v86 :: v_dual_sub_f32 v86, v174, v101
	v_add_f32_e32 v84, v84, v177
	s_delay_alu instid0(VALU_DEP_2) | instskip(SKIP_2) | instid1(VALU_DEP_2)
	v_fmamk_f32 v88, v86, 0xbf5db3d7, v87
	v_dual_fmac_f32 v87, 0x3f5db3d7, v86 :: v_dual_add_f32 v86, v168, v176
	v_dual_fmac_f32 v168, -0.5, v89 :: v_dual_sub_f32 v89, v100, v92
	v_add_f32_e32 v86, v86, v178
	s_delay_alu instid0(VALU_DEP_2) | instskip(SKIP_3) | instid1(VALU_DEP_3)
	v_fmamk_f32 v90, v89, 0x3f5db3d7, v168
	v_dual_fmac_f32 v168, 0xbf5db3d7, v89 :: v_dual_add_f32 v89, v171, v100
	v_fmac_f32_e32 v171, -0.5, v91
	v_sub_f32_e32 v91, v176, v178
	v_dual_add_f32 v98, v82, v86 :: v_dual_mul_f32 v95, -0.5, v168
	s_delay_alu instid0(VALU_DEP_4) | instskip(NEXT) | instid1(VALU_DEP_3)
	v_dual_add_f32 v89, v89, v92 :: v_dual_sub_f32 v100, v82, v86
	v_fmamk_f32 v93, v91, 0xbf5db3d7, v171
	v_dual_fmac_f32 v171, 0x3f5db3d7, v91 :: v_dual_add_f32 v82, v80, v181
	s_delay_alu instid0(VALU_DEP_3) | instskip(SKIP_1) | instid1(VALU_DEP_4)
	v_add_f32_e32 v99, v84, v89
	v_sub_f32_e32 v101, v84, v89
	v_mul_f32_e32 v91, 0x3f5db3d7, v93
	s_delay_alu instid0(VALU_DEP_4) | instskip(SKIP_1) | instid1(VALU_DEP_2)
	v_dual_fmac_f32 v95, 0x3f5db3d7, v171 :: v_dual_add_f32 v84, v182, v186
	v_dual_mul_f32 v97, -0.5, v171 :: v_dual_add_f32 v82, v82, v185
	v_dual_fmac_f32 v91, 0.5, v90 :: v_dual_add_f32 v92, v83, v95
	v_dual_sub_f32 v96, v83, v95 :: v_dual_add_f32 v83, v181, v185
	v_mul_f32_e32 v90, 0xbf5db3d7, v90
	s_delay_alu instid0(VALU_DEP_3) | instskip(SKIP_1) | instid1(VALU_DEP_4)
	v_add_f32_e32 v102, v85, v91
	v_dual_sub_f32 v94, v85, v91 :: v_dual_fmac_f32 v97, 0xbf5db3d7, v168
	v_fma_f32 v80, -0.5, v83, v80
	s_delay_alu instid0(VALU_DEP_4) | instskip(NEXT) | instid1(VALU_DEP_3)
	v_dual_sub_f32 v83, v182, v186 :: v_dual_fmac_f32 v90, 0.5, v93
	v_add_f32_e32 v93, v87, v97
	v_sub_f32_e32 v97, v87, v97
	s_delay_alu instid0(VALU_DEP_3) | instskip(SKIP_4) | instid1(VALU_DEP_4)
	v_fmamk_f32 v89, v83, 0x3f5db3d7, v80
	v_dual_fmac_f32 v80, 0xbf5db3d7, v83 :: v_dual_add_f32 v83, v81, v182
	v_dual_fmac_f32 v81, -0.5, v84 :: v_dual_sub_f32 v84, v181, v185
	v_add_f32_e32 v103, v88, v90
	v_sub_f32_e32 v95, v88, v90
	v_add_f32_e32 v83, v83, v186
	s_delay_alu instid0(VALU_DEP_4) | instskip(SKIP_1) | instid1(VALU_DEP_1)
	v_fmamk_f32 v159, v84, 0xbf5db3d7, v81
	v_dual_fmac_f32 v81, 0x3f5db3d7, v84 :: v_dual_add_f32 v84, v179, v183
	v_add_f32_e32 v88, v84, v187
	v_add_f32_e32 v84, v183, v187
	s_delay_alu instid0(VALU_DEP_2) | instskip(NEXT) | instid1(VALU_DEP_2)
	v_add_f32_e32 v86, v82, v88
	v_fmac_f32_e32 v179, -0.5, v84
	v_sub_f32_e32 v84, v184, v188
	s_delay_alu instid0(VALU_DEP_1) | instskip(SKIP_1) | instid1(VALU_DEP_2)
	v_dual_sub_f32 v88, v82, v88 :: v_dual_fmamk_f32 v85, v84, 0x3f5db3d7, v179
	v_fmac_f32_e32 v179, 0xbf5db3d7, v84
	v_dual_add_f32 v84, v180, v184 :: v_dual_mul_f32 v167, 0xbf5db3d7, v85
	s_delay_alu instid0(VALU_DEP_2) | instskip(NEXT) | instid1(VALU_DEP_2)
	v_mul_f32_e32 v166, -0.5, v179
	v_add_f32_e32 v164, v84, v188
	v_add_f32_e32 v84, v184, v188
	s_delay_alu instid0(VALU_DEP_2) | instskip(NEXT) | instid1(VALU_DEP_2)
	v_add_f32_e32 v87, v83, v164
	v_fmac_f32_e32 v180, -0.5, v84
	v_sub_f32_e32 v84, v183, v187
	s_delay_alu instid0(VALU_DEP_1) | instskip(NEXT) | instid1(VALU_DEP_1)
	v_fmamk_f32 v91, v84, 0xbf5db3d7, v180
	v_dual_fmac_f32 v180, 0x3f5db3d7, v84 :: v_dual_mul_f32 v165, 0x3f5db3d7, v91
	s_delay_alu instid0(VALU_DEP_1) | instskip(NEXT) | instid1(VALU_DEP_2)
	v_dual_fmac_f32 v167, 0.5, v91 :: v_dual_mul_f32 v168, -0.5, v180
	v_dual_fmac_f32 v166, 0x3f5db3d7, v180 :: v_dual_fmac_f32 v165, 0.5, v85
	s_delay_alu instid0(VALU_DEP_2) | instskip(NEXT) | instid1(VALU_DEP_3)
	v_add_f32_e32 v91, v159, v167
	v_fmac_f32_e32 v168, 0xbf5db3d7, v179
	s_delay_alu instid0(VALU_DEP_3)
	v_add_f32_e32 v84, v80, v166
	v_sub_f32_e32 v80, v80, v166
	v_add_f32_e32 v90, v89, v165
	v_dual_sub_f32 v82, v89, v165 :: v_dual_sub_f32 v89, v83, v164
	v_sub_f32_e32 v83, v159, v167
	s_wait_alu 0xfffd
	v_cndmask_b32_e64 v159, 0, 0x168, vcc_lo
	v_add_f32_e32 v85, v81, v168
	v_sub_f32_e32 v81, v81, v168
	v_cmp_gt_u16_e64 vcc_lo, 0x48, v140
	s_delay_alu instid0(VALU_DEP_4)
	v_add_lshl_u32 v0, v156, v159, 3
	ds_store_2addr_b64 v0, v[128:129], v[136:137] offset0:120 offset1:180
	v_and_b32_e32 v128, 0xffff, v157
	ds_store_2addr_b64 v0, v[134:135], v[138:139] offset1:60
	scratch_store_b32 off, v0, off offset:404 ; 4-byte Folded Spill
	v_add_nc_u32_e32 v0, 0x400, v0
	v_mul_u32_u24_e32 v128, 0x168, v128
	scratch_store_b32 off, v0, off offset:280 ; 4-byte Folded Spill
	ds_store_2addr_b64 v0, v[130:131], v[132:133] offset0:112 offset1:172
	v_add_lshl_u32 v0, v128, v158, 3
	scratch_store_b32 off, v0, off offset:300 ; 4-byte Folded Spill
	ds_store_2addr_b64 v0, v[122:123], v[126:127] offset1:60
	ds_store_2addr_b64 v0, v[116:117], v[124:125] offset0:120 offset1:180
	v_mad_u16 v116, 0x168, v150, v151
	v_add_nc_u32_e32 v1, 0x400, v0
	s_delay_alu instid0(VALU_DEP_2)
	v_and_b32_e32 v116, 0xffff, v116
	ds_store_2addr_b64 v1, v[118:119], v[120:121] offset0:112 offset1:172
	v_lshlrev_b32_e32 v0, 3, v116
	s_clause 0x1
	scratch_store_b32 off, v1, off offset:284
	scratch_store_b32 off, v0, off offset:392
	ds_store_2addr_b64 v0, v[110:111], v[114:115] offset1:60
	ds_store_2addr_b64 v0, v[104:105], v[112:113] offset0:120 offset1:180
	v_mad_u16 v104, 0x168, v152, v153
	v_add_nc_u32_e32 v1, 0x400, v0
	s_delay_alu instid0(VALU_DEP_2)
	v_and_b32_e32 v104, 0xffff, v104
	ds_store_2addr_b64 v1, v[106:107], v[108:109] offset0:112 offset1:172
	v_lshlrev_b32_e32 v0, 3, v104
	s_clause 0x1
	scratch_store_b32 off, v1, off offset:356
	scratch_store_b32 off, v0, off offset:396
	ds_store_2addr_b64 v0, v[98:99], v[102:103] offset1:60
	ds_store_2addr_b64 v0, v[92:93], v[100:101] offset0:120 offset1:180
	v_mad_u16 v92, 0x168, v154, v155
	v_add_nc_u32_e32 v1, 0x400, v0
	s_delay_alu instid0(VALU_DEP_2)
	v_and_b32_e32 v92, 0xffff, v92
	scratch_store_b32 off, v1, off offset:380 ; 4-byte Folded Spill
	ds_store_2addr_b64 v1, v[94:95], v[96:97] offset0:112 offset1:172
	v_lshlrev_b32_e32 v0, 3, v92
	ds_store_2addr_b64 v0, v[86:87], v[90:91] offset1:60
	ds_store_2addr_b64 v0, v[84:85], v[88:89] offset0:120 offset1:180
	v_add_nc_u32_e32 v1, 0x400, v0
	s_clause 0x1
	scratch_store_b32 off, v0, off offset:424
	scratch_store_b32 off, v1, off offset:416
	ds_store_2addr_b64 v1, v[82:83], v[80:81] offset0:112 offset1:172
	global_wb scope:SCOPE_SE
	s_wait_storecnt_dscnt 0x0
	s_barrier_signal -1
	s_barrier_wait -1
	global_inv scope:SCOPE_SE
	ds_load_2addr_b64 v[108:111], v24 offset1:96
	ds_load_2addr_b64 v[80:83], v200 offset0:64 offset1:160
	ds_load_2addr_b64 v[118:121], v235 offset1:96
	ds_load_2addr_b64 v[104:107], v245 offset0:64 offset1:160
	ds_load_2addr_b64 v[122:125], v214 offset0:64 offset1:160
	;; [unrolled: 1-line block ×6, first 2 shown]
	ds_load_2addr_b64 v[92:95], v199 offset1:96
	ds_load_2addr_b64 v[134:137], v244 offset1:96
	ds_load_2addr_b64 v[88:91], v201 offset0:64 offset1:160
	ds_load_2addr_b64 v[150:153], v215 offset0:64 offset1:160
	;; [unrolled: 1-line block ×4, first 2 shown]
	global_load_b64 v[0:1], v24, s[6:7] offset:2800
	s_clause 0x1
	scratch_store_b32 off, v197, off offset:268
	scratch_store_b32 off, v198, off offset:272
	s_wait_loadcnt_dscnt 0xd
	v_mul_f32_e32 v116, v83, v1
	v_mul_f32_e32 v117, v82, v1
	scratch_store_b64 off, v[0:1], off offset:408 ; 8-byte Folded Spill
	v_fma_f32 v116, v82, v0, -v116
	v_fmac_f32_e32 v117, v83, v0
	global_load_b64 v[0:1], v24, s[6:7] offset:3568
	s_wait_loadcnt_dscnt 0xc
	v_mul_f32_e32 v82, v119, v1
	v_mul_f32_e32 v139, v118, v1
	scratch_store_b64 off, v[0:1], off offset:384 ; 8-byte Folded Spill
	v_fma_f32 v138, v118, v0, -v82
	v_fmac_f32_e32 v139, v119, v0
	global_load_b64 v[0:1], v24, s[6:7] offset:4336
	s_wait_loadcnt 0x0
	v_mul_f32_e32 v82, v121, v1
	scratch_store_b64 off, v[0:1], off offset:372 ; 8-byte Folded Spill
	v_fma_f32 v154, v120, v0, -v82
	v_add_co_u32 v82, s8, 0xffffffb8, v2
	s_wait_alu 0xf1ff
	v_add_co_ci_u32_e64 v83, null, 0, -1, s8
	v_mul_f32_e32 v120, v120, v1
	s_wait_alu 0xfffd
	s_delay_alu instid0(VALU_DEP_2) | instskip(NEXT) | instid1(VALU_DEP_2)
	v_dual_cndmask_b32 v82, v82, v144 :: v_dual_cndmask_b32 v83, v83, v145
	v_dual_fmac_f32 v120, v121, v0 :: v_dual_and_b32 v145, 0xffff, v146
	s_delay_alu instid0(VALU_DEP_2) | instskip(NEXT) | instid1(VALU_DEP_2)
	v_lshlrev_b64_e32 v[118:119], 3, v[82:83]
	v_mul_u32_u24_e32 v145, 0x2d83, v145
	s_delay_alu instid0(VALU_DEP_2) | instskip(SKIP_1) | instid1(VALU_DEP_3)
	v_add_co_u32 v118, vcc_lo, s6, v118
	s_wait_alu 0xfffd
	v_add_co_ci_u32_e32 v119, vcc_lo, s7, v119, vcc_lo
	s_delay_alu instid0(VALU_DEP_3) | instskip(SKIP_3) | instid1(VALU_DEP_1)
	v_lshrrev_b32_e32 v145, 22, v145
	v_cmp_lt_u16_e64 vcc_lo, 0x47, v140
	global_load_b64 v[0:1], v[118:119], off offset:2800
	v_mul_lo_u16 v145, 0x168, v145
	v_sub_nc_u16 v145, v146, v145
	s_delay_alu instid0(VALU_DEP_1)
	v_and_b32_e32 v145, 0xffff, v145
	s_wait_loadcnt_dscnt 0xa
	v_mul_f32_e32 v83, v123, v1
	v_mul_f32_e32 v121, v122, v1
	scratch_store_b64 off, v[0:1], off offset:452 ; 8-byte Folded Spill
	v_fma_f32 v119, v122, v0, -v83
	v_fmac_f32_e32 v121, v123, v0
	global_load_b64 v[0:1], v24, s[6:7] offset:2992
	v_sub_f32_e32 v119, v106, v119
	s_delay_alu instid0(VALU_DEP_1)
	v_fma_f32 v106, v106, 2.0, -v119
	s_wait_loadcnt 0x0
	v_mul_f32_e32 v83, v125, v1
	v_mul_f32_e32 v123, v124, v1
	scratch_store_b64 off, v[0:1], off offset:444 ; 8-byte Folded Spill
	v_fma_f32 v122, v124, v0, -v83
	v_fmac_f32_e32 v123, v125, v0
	global_load_b64 v[0:1], v24, s[6:7] offset:3760
	s_wait_loadcnt_dscnt 0x8
	v_mul_f32_e32 v83, v127, v1
	v_mul_f32_e32 v125, v126, v1
	scratch_store_b64 off, v[0:1], off offset:436 ; 8-byte Folded Spill
	v_fma_f32 v124, v126, v0, -v83
	v_fmac_f32_e32 v125, v127, v0
	global_load_b64 v[0:1], v24, s[6:7] offset:4528
	s_wait_loadcnt 0x0
	v_mul_f32_e32 v83, v129, v1
	v_mul_f32_e32 v127, v128, v1
	scratch_store_b64 off, v[0:1], off offset:428 ; 8-byte Folded Spill
	v_fma_f32 v126, v128, v0, -v83
	v_and_b32_e32 v83, 0xffff, v141
	v_fmac_f32_e32 v127, v129, v0
	scratch_store_b32 off, v2, off offset:276 ; 4-byte Folded Spill
	v_mul_u32_u24_e32 v83, 0x2d83, v83
	s_delay_alu instid0(VALU_DEP_1) | instskip(NEXT) | instid1(VALU_DEP_1)
	v_lshrrev_b32_e32 v83, 22, v83
	v_mul_lo_u16 v118, 0x168, v83
	s_delay_alu instid0(VALU_DEP_1) | instskip(NEXT) | instid1(VALU_DEP_1)
	v_sub_nc_u16 v118, v141, v118
	v_and_b32_e32 v128, 0xffff, v118
	s_delay_alu instid0(VALU_DEP_1)
	v_lshlrev_b32_e32 v128, 3, v128
	global_load_b64 v[0:1], v128, s[6:7] offset:2800
	s_wait_loadcnt_dscnt 0x6
	v_mul_f32_e32 v128, v131, v1
	v_mul_f32_e32 v129, v130, v1
	scratch_store_b64 off, v[0:1], off offset:460 ; 8-byte Folded Spill
	v_fma_f32 v128, v130, v0, -v128
	v_mul_u32_u24_e32 v130, 0x2d83, v197
	v_fmac_f32_e32 v129, v131, v0
	s_delay_alu instid0(VALU_DEP_2) | instskip(NEXT) | instid1(VALU_DEP_1)
	v_lshrrev_b32_e32 v130, 22, v130
	v_mul_lo_u16 v130, 0x168, v130
	s_delay_alu instid0(VALU_DEP_1) | instskip(NEXT) | instid1(VALU_DEP_1)
	v_sub_nc_u16 v130, v197, v130
	v_and_b32_e32 v130, 0xffff, v130
	s_delay_alu instid0(VALU_DEP_1)
	v_lshlrev_b32_e32 v0, 3, v130
	global_load_b64 v[3:4], v0, s[6:7] offset:2800
	s_wait_loadcnt 0x0
	v_mul_f32_e32 v130, v133, v4
	v_mul_f32_e32 v131, v132, v4
	scratch_store_b64 off, v[3:4], off offset:532 ; 8-byte Folded Spill
	v_fma_f32 v130, v132, v3, -v130
	v_and_b32_e32 v132, 0xffff, v143
	v_fmac_f32_e32 v131, v133, v3
	s_delay_alu instid0(VALU_DEP_2) | instskip(NEXT) | instid1(VALU_DEP_1)
	v_mul_u32_u24_e32 v132, 0x2d83, v132
	v_lshrrev_b32_e32 v132, 22, v132
	s_delay_alu instid0(VALU_DEP_1) | instskip(NEXT) | instid1(VALU_DEP_1)
	v_mul_lo_u16 v132, 0x168, v132
	v_sub_nc_u16 v132, v143, v132
	v_mul_u32_u24_e32 v143, 0x2d83, v198
	s_delay_alu instid0(VALU_DEP_2) | instskip(NEXT) | instid1(VALU_DEP_2)
	v_and_b32_e32 v132, 0xffff, v132
	v_lshrrev_b32_e32 v143, 22, v143
	s_delay_alu instid0(VALU_DEP_2) | instskip(NEXT) | instid1(VALU_DEP_2)
	v_lshlrev_b32_e32 v3, 3, v132
	v_mul_lo_u16 v143, 0x168, v143
	global_load_b64 v[4:5], v3, s[6:7] offset:2800
	v_sub_nc_u16 v143, v198, v143
	s_wait_loadcnt_dscnt 0x4
	s_delay_alu instid0(VALU_DEP_1) | instskip(SKIP_4) | instid1(VALU_DEP_1)
	v_dual_mul_f32 v132, v135, v5 :: v_dual_and_b32 v143, 0xffff, v143
	v_mul_f32_e32 v133, v134, v5
	scratch_store_b64 off, v[4:5], off offset:540 ; 8-byte Folded Spill
	v_fma_f32 v132, v134, v4, -v132
	v_dual_fmac_f32 v133, v135, v4 :: v_dual_and_b32 v134, 0xffff, v147
	v_mul_u32_u24_e32 v134, 0x2d83, v134
	s_delay_alu instid0(VALU_DEP_1) | instskip(NEXT) | instid1(VALU_DEP_1)
	v_lshrrev_b32_e32 v134, 22, v134
	v_mul_lo_u16 v134, 0x168, v134
	s_delay_alu instid0(VALU_DEP_1) | instskip(NEXT) | instid1(VALU_DEP_1)
	v_sub_nc_u16 v134, v147, v134
	v_and_b32_e32 v134, 0xffff, v134
	s_delay_alu instid0(VALU_DEP_1)
	v_lshlrev_b32_e32 v4, 3, v134
	global_load_b64 v[5:6], v4, s[6:7] offset:2800
	s_wait_loadcnt 0x0
	v_mul_f32_e32 v134, v137, v6
	v_mul_f32_e32 v135, v136, v6
	scratch_store_b64 off, v[5:6], off offset:556 ; 8-byte Folded Spill
	v_lshlrev_b32_e32 v6, 3, v145
	v_fma_f32 v134, v136, v5, -v134
	v_and_b32_e32 v136, 0xffff, v149
	v_fmac_f32_e32 v135, v137, v5
	v_lshlrev_b32_e32 v5, 3, v143
	global_load_b64 v[219:220], v6, s[6:7] offset:2800
	v_mul_u32_u24_e32 v136, 0x2d83, v136
	global_load_b64 v[250:251], v5, s[6:7] offset:2800
	v_lshrrev_b32_e32 v147, 22, v136
	s_delay_alu instid0(VALU_DEP_1) | instskip(NEXT) | instid1(VALU_DEP_1)
	v_mul_lo_u16 v136, 0x168, v147
	v_sub_nc_u16 v149, v149, v136
	s_delay_alu instid0(VALU_DEP_1) | instskip(NEXT) | instid1(VALU_DEP_1)
	v_and_b32_e32 v136, 0xffff, v149
	v_lshlrev_b32_e32 v136, 3, v136
	global_load_b64 v[252:253], v136, s[6:7] offset:2800
	s_wait_loadcnt_dscnt 0x200
	v_mul_f32_e32 v145, v113, v220
	s_wait_loadcnt 0x1
	v_dual_mul_f32 v146, v112, v220 :: v_dual_mul_f32 v143, v153, v251
	s_delay_alu instid0(VALU_DEP_2) | instskip(SKIP_1) | instid1(VALU_DEP_3)
	v_fma_f32 v145, v112, v219, -v145
	v_and_b32_e32 v112, 0xffff, v148
	v_fmac_f32_e32 v146, v113, v219
	v_sub_f32_e32 v113, v109, v117
	v_dual_sub_f32 v117, v105, v120 :: v_dual_mul_f32 v144, v152, v251
	s_delay_alu instid0(VALU_DEP_4) | instskip(SKIP_1) | instid1(VALU_DEP_4)
	v_mul_u32_u24_e32 v112, 0x2d83, v112
	v_fma_f32 v143, v152, v250, -v143
	v_fma_f32 v109, v109, 2.0, -v113
	s_delay_alu instid0(VALU_DEP_4) | instskip(SKIP_4) | instid1(VALU_DEP_3)
	v_fma_f32 v105, v105, 2.0, -v117
	v_fmac_f32_e32 v144, v153, v250
	v_lshrrev_b32_e32 v112, 22, v112
	v_dual_sub_f32 v120, v107, v121 :: v_dual_sub_f32 v121, v100, v122
	v_dual_sub_f32 v122, v101, v123 :: v_dual_sub_f32 v123, v102, v124
	v_mul_lo_u16 v112, 0x168, v112
	v_dual_sub_f32 v124, v103, v125 :: v_dual_sub_f32 v125, v96, v126
	v_dual_sub_f32 v126, v97, v127 :: v_dual_sub_f32 v127, v98, v128
	s_delay_alu instid0(VALU_DEP_3) | instskip(SKIP_3) | instid1(VALU_DEP_4)
	v_sub_nc_u16 v112, v148, v112
	v_dual_sub_f32 v128, v99, v129 :: v_dual_sub_f32 v129, v92, v130
	v_sub_f32_e32 v130, v93, v131
	v_fma_f32 v107, v107, 2.0, -v120
	v_and_b32_e32 v112, 0xffff, v112
	s_wait_loadcnt 0x0
	v_mul_f32_e32 v136, v151, v253
	v_mul_f32_e32 v137, v150, v253
	v_fma_f32 v98, v98, 2.0, -v127
	v_fma_f32 v99, v99, 2.0, -v128
	v_lshlrev_b32_e32 v7, 3, v112
	v_fma_f32 v136, v150, v252, -v136
	v_fmac_f32_e32 v137, v151, v252
	v_fma_f32 v92, v92, 2.0, -v129
	v_fma_f32 v93, v93, 2.0, -v130
	global_load_b64 v[254:255], v7, s[6:7] offset:2800
	global_wb scope:SCOPE_SE
	s_wait_loadcnt 0x0
	s_wait_storecnt 0x0
	s_barrier_signal -1
	s_barrier_wait -1
	global_inv scope:SCOPE_SE
	v_dual_sub_f32 v131, v94, v132 :: v_dual_sub_f32 v132, v95, v133
	v_dual_sub_f32 v133, v88, v134 :: v_dual_sub_f32 v134, v89, v135
	;; [unrolled: 1-line block ×3, first 2 shown]
	v_sub_f32_e32 v137, v84, v143
	v_sub_f32_e32 v143, v86, v145
	v_fma_f32 v100, v100, 2.0, -v121
	v_fma_f32 v101, v101, 2.0, -v122
	;; [unrolled: 1-line block ×14, first 2 shown]
	v_mul_f32_e32 v112, v115, v255
	v_mul_f32_e32 v150, v114, v255
	s_delay_alu instid0(VALU_DEP_2) | instskip(NEXT) | instid1(VALU_DEP_2)
	v_fma_f32 v148, v114, v254, -v112
	v_fmac_f32_e32 v150, v115, v254
	v_sub_f32_e32 v112, v108, v116
	v_dual_sub_f32 v114, v110, v138 :: v_dual_sub_f32 v115, v111, v139
	v_sub_f32_e32 v116, v104, v154
	v_sub_f32_e32 v138, v85, v144
	s_delay_alu instid0(VALU_DEP_4) | instskip(NEXT) | instid1(VALU_DEP_4)
	v_fma_f32 v108, v108, 2.0, -v112
	v_fma_f32 v110, v110, 2.0, -v114
	;; [unrolled: 1-line block ×4, first 2 shown]
	ds_store_b64 v24, v[112:113] offset:2880
	ds_store_2addr_b64 v24, v[108:109], v[110:111] offset1:96
	ds_store_b64 v24, v[104:105] offset:1536
	s_wait_alu 0xfffd
	v_cndmask_b32_e64 v104, 0, 0x2d0, vcc_lo
	v_dual_sub_f32 v144, v87, v146 :: v_dual_sub_f32 v145, v80, v148
	v_sub_f32_e32 v146, v81, v150
	v_fma_f32 v85, v85, 2.0, -v138
	s_delay_alu instid0(VALU_DEP_4)
	v_add_lshl_u32 v1, v82, v104, 3
	v_mad_u16 v82, 0x2d0, v83, v118
	v_fma_f32 v87, v87, 2.0, -v144
	v_fma_f32 v80, v80, 2.0, -v145
	;; [unrolled: 1-line block ×3, first 2 shown]
	ds_store_2addr_b64 v25, v[114:115], v[116:117] offset0:72 offset1:168
	v_and_b32_e32 v82, 0xffff, v82
	scratch_store_b32 off, v1, off offset:508 ; 4-byte Folded Spill
	ds_store_b64 v1, v[106:107]
	ds_store_b64 v1, v[119:120] offset:2880
	ds_store_2addr_b64 v210, v[100:101], v[102:103] offset0:104 offset1:200
	ds_store_2addr_b64 v201, v[96:97], v[121:122] offset0:40 offset1:208
	;; [unrolled: 1-line block ×3, first 2 shown]
	v_cmp_gt_u16_e64 vcc_lo, 48, v140
	v_lshlrev_b32_e32 v8, 3, v82
	v_mad_u16 v82, 0x2d0, v147, v149
	scratch_store_b32 off, v8, off offset:488 ; 4-byte Folded Spill
	v_and_b32_e32 v82, 0xffff, v82
	ds_store_b64 v8, v[98:99]
	ds_store_b64 v8, v[127:128] offset:2880
	scratch_store_b32 off, v0, off offset:476 ; 4-byte Folded Spill
	ds_store_b64 v0, v[92:93] offset:11520
	ds_store_b64 v0, v[129:130] offset:14400
	scratch_store_b32 off, v3, off offset:480 ; 4-byte Folded Spill
	v_lshlrev_b32_e32 v0, 3, v82
	ds_store_b64 v3, v[94:95] offset:11520
	ds_store_b64 v3, v[131:132] offset:14400
	scratch_store_b32 off, v4, off offset:484 ; 4-byte Folded Spill
	ds_store_b64 v4, v[88:89] offset:11520
	ds_store_b64 v4, v[133:134] offset:14400
	v_mov_b32_e32 v3, v201
	scratch_store_b32 off, v0, off offset:504 ; 4-byte Folded Spill
	ds_store_b64 v0, v[90:91]
	ds_store_b64 v0, v[135:136] offset:2880
	scratch_store_b32 off, v5, off offset:492 ; 4-byte Folded Spill
	ds_store_b64 v5, v[84:85] offset:17280
	ds_store_b64 v5, v[137:138] offset:20160
	scratch_store_b32 off, v6, off offset:496 ; 4-byte Folded Spill
	ds_store_b64 v6, v[86:87] offset:17280
	;; [unrolled: 3-line block ×3, first 2 shown]
	ds_store_b64 v7, v[145:146] offset:20160
	global_wb scope:SCOPE_SE
	s_wait_storecnt_dscnt 0x0
	s_barrier_signal -1
	s_barrier_wait -1
	global_inv scope:SCOPE_SE
	ds_load_2addr_b64 v[80:83], v24 offset1:96
	ds_load_2addr_b64 v[84:87], v200 offset0:64 offset1:160
	ds_load_2addr_b64 v[88:91], v235 offset1:96
	ds_load_2addr_b64 v[92:95], v245 offset0:64 offset1:160
	ds_load_2addr_b64 v[96:99], v214 offset0:64 offset1:160
	;; [unrolled: 1-line block ×6, first 2 shown]
	ds_load_2addr_b64 v[116:119], v199 offset1:96
	ds_load_2addr_b64 v[120:123], v244 offset1:96
	ds_load_2addr_b64 v[124:127], v201 offset0:64 offset1:160
	ds_load_2addr_b64 v[128:131], v215 offset0:64 offset1:160
	;; [unrolled: 1-line block ×4, first 2 shown]
	s_clause 0x9
	global_load_b64 v[246:247], v24, s[6:7] offset:5680
	global_load_b64 v[221:222], v24, s[6:7] offset:6448
	;; [unrolled: 1-line block ×10, first 2 shown]
	v_mov_b32_e32 v7, v215
	s_clause 0x3
	global_load_b64 v[215:216], v24, s[6:7] offset:6832
	global_load_b64 v[231:232], v24, s[6:7] offset:6064
	;; [unrolled: 1-line block ×4, first 2 shown]
	s_wait_loadcnt_dscnt 0xd0d
	v_dual_mov_b32 v8, v200 :: v_dual_mul_f32 v143, v87, v247
	v_mul_f32_e32 v144, v86, v247
	s_wait_loadcnt_dscnt 0xc0c
	v_mul_f32_e32 v146, v88, v222
	s_wait_loadcnt 0xb
	v_mul_f32_e32 v148, v90, v224
	s_wait_loadcnt_dscnt 0xa0a
	v_mul_f32_e32 v150, v96, v226
	v_fma_f32 v143, v86, v246, -v143
	v_mul_f32_e32 v86, v89, v222
	v_fmac_f32_e32 v144, v87, v246
	v_fmac_f32_e32 v146, v89, v221
	s_wait_loadcnt_dscnt 0x600
	v_mul_f32_e32 v172, v136, v249
	v_fmac_f32_e32 v148, v91, v223
	v_fma_f32 v145, v88, v221, -v86
	v_mul_f32_e32 v86, v91, v224
	s_wait_loadcnt 0x2
	v_mul_f32_e32 v158, v114, v232
	v_mul_f32_e32 v164, v120, v216
	s_wait_loadcnt 0x0
	v_mul_f32_e32 v170, v130, v214
	v_sub_f32_e32 v89, v82, v145
	v_fma_f32 v147, v90, v223, -v86
	v_mul_f32_e32 v86, v97, v226
	v_sub_f32_e32 v90, v83, v146
	v_mul_f32_e32 v152, v98, v228
	v_mul_f32_e32 v154, v104, v239
	;; [unrolled: 1-line block ×3, first 2 shown]
	v_fma_f32 v149, v96, v225, -v86
	v_mul_f32_e32 v86, v99, v228
	v_mul_f32_e32 v168, v128, v6
	;; [unrolled: 1-line block ×4, first 2 shown]
	v_fmac_f32_e32 v150, v97, v225
	v_fma_f32 v151, v98, v227, -v86
	v_mul_f32_e32 v86, v105, v239
	v_fmac_f32_e32 v158, v115, v231
	v_fmac_f32_e32 v164, v121, v215
	v_fmac_f32_e32 v170, v131, v213
	v_fmac_f32_e32 v172, v137, v248
	v_fma_f32 v153, v104, v238, -v86
	v_mul_f32_e32 v86, v107, v241
	v_fma_f32 v82, v82, 2.0, -v89
	v_fma_f32 v83, v83, 2.0, -v90
	v_fmac_f32_e32 v152, v99, v227
	v_fmac_f32_e32 v154, v105, v238
	v_fma_f32 v155, v106, v240, -v86
	v_add_co_u32 v86, s8, 0xffffffd0, v2
	s_wait_alu 0xf1ff
	v_add_co_ci_u32_e64 v87, null, 0, -1, s8
	v_fmac_f32_e32 v166, v123, v217
	s_wait_alu 0xfffd
	v_cndmask_b32_e32 v86, v86, v141, vcc_lo
	s_delay_alu instid0(VALU_DEP_3) | instskip(SKIP_3) | instid1(VALU_DEP_4)
	v_dual_fmac_f32 v168, v129, v5 :: v_dual_cndmask_b32 v87, v87, v142
	v_fmac_f32_e32 v174, v139, v242
	v_dual_sub_f32 v96, v92, v147 :: v_dual_sub_f32 v97, v93, v148
	v_fmac_f32_e32 v156, v107, v240
	v_lshlrev_b64_e32 v[87:88], 3, v[86:87]
	scratch_store_b64 off, v[5:6], off offset:548 ; 8-byte Folded Spill
	v_dual_sub_f32 v98, v94, v149 :: v_dual_sub_f32 v99, v95, v150
	v_dual_sub_f32 v104, v100, v151 :: v_dual_sub_f32 v105, v101, v152
	v_add_co_u32 v87, vcc_lo, s6, v87
	s_wait_alu 0xfffd
	v_add_co_ci_u32_e32 v88, vcc_lo, s7, v88, vcc_lo
	v_cmp_lt_u16_e64 vcc_lo, 47, v140
	v_dual_sub_f32 v106, v102, v153 :: v_dual_sub_f32 v107, v103, v154
	global_load_b64 v[229:230], v[87:88], off offset:5680
	v_sub_f32_e32 v88, v81, v144
	global_wb scope:SCOPE_SE
	s_wait_loadcnt 0x0
	s_wait_storecnt 0x0
	s_barrier_signal -1
	s_barrier_wait -1
	global_inv scope:SCOPE_SE
	v_fma_f32 v81, v81, 2.0, -v88
	v_fma_f32 v91, v92, 2.0, -v96
	;; [unrolled: 1-line block ×9, first 2 shown]
	s_mul_i32 s8, s1, 0xffffb200
	s_wait_alu 0xfffe
	s_sub_co_i32 s8, s8, s0
	v_mul_f32_e32 v87, v113, v230
	v_mul_f32_e32 v142, v112, v230
	s_delay_alu instid0(VALU_DEP_2) | instskip(NEXT) | instid1(VALU_DEP_2)
	v_fma_f32 v141, v112, v229, -v87
	v_dual_mul_f32 v87, v115, v232 :: v_dual_fmac_f32 v142, v113, v229
	v_dual_sub_f32 v112, v108, v155 :: v_dual_sub_f32 v113, v109, v156
	s_delay_alu instid0(VALU_DEP_2) | instskip(NEXT) | instid1(VALU_DEP_4)
	v_fma_f32 v157, v114, v231, -v87
	v_dual_mul_f32 v87, v121, v216 :: v_dual_sub_f32 v114, v110, v141
	s_delay_alu instid0(VALU_DEP_4) | instskip(SKIP_2) | instid1(VALU_DEP_4)
	v_sub_f32_e32 v115, v111, v142
	v_sub_f32_e32 v121, v117, v158
	v_sub_f32_e32 v142, v85, v174
	v_fma_f32 v159, v120, v215, -v87
	v_dual_mul_f32 v87, v123, v218 :: v_dual_sub_f32 v120, v116, v157
	v_sub_f32_e32 v123, v119, v164
	v_fma_f32 v110, v110, 2.0, -v114
	v_fma_f32 v111, v111, 2.0, -v115
	s_delay_alu instid0(VALU_DEP_4) | instskip(SKIP_4) | instid1(VALU_DEP_4)
	v_fma_f32 v165, v122, v217, -v87
	v_dual_mul_f32 v87, v129, v6 :: v_dual_sub_f32 v122, v118, v159
	v_sub_f32_e32 v129, v125, v166
	v_fma_f32 v116, v116, 2.0, -v120
	v_fma_f32 v117, v117, 2.0, -v121
	v_fma_f32 v167, v128, v5, -v87
	v_dual_mul_f32 v87, v131, v214 :: v_dual_sub_f32 v128, v124, v165
	v_sub_f32_e32 v131, v127, v168
	v_fma_f32 v118, v118, 2.0, -v122
	v_fma_f32 v119, v119, 2.0, -v123
	s_delay_alu instid0(VALU_DEP_4) | instskip(SKIP_4) | instid1(VALU_DEP_4)
	v_fma_f32 v169, v130, v213, -v87
	v_mul_f32_e32 v87, v137, v249
	v_dual_sub_f32 v137, v133, v170 :: v_dual_sub_f32 v130, v126, v167
	v_fma_f32 v124, v124, 2.0, -v128
	v_fma_f32 v125, v125, 2.0, -v129
	v_fma_f32 v171, v136, v248, -v87
	v_dual_mul_f32 v87, v139, v243 :: v_dual_sub_f32 v136, v132, v169
	v_sub_f32_e32 v139, v135, v172
	v_fma_f32 v133, v133, 2.0, -v137
	v_fma_f32 v126, v126, 2.0, -v130
	s_delay_alu instid0(VALU_DEP_4)
	v_fma_f32 v173, v138, v242, -v87
	v_sub_f32_e32 v87, v80, v143
	v_sub_f32_e32 v138, v134, v171
	v_fma_f32 v132, v132, 2.0, -v136
	v_fma_f32 v135, v135, 2.0, -v139
	v_sub_f32_e32 v141, v84, v173
	v_fma_f32 v80, v80, 2.0, -v87
	ds_store_b64 v24, v[87:88] offset:5760
	ds_store_2addr_b64 v24, v[80:81], v[82:83] offset1:96
	ds_store_2addr_b64 v199, v[89:90], v[96:97] offset0:48 offset1:144
	s_wait_alu 0xfffd
	v_cndmask_b32_e64 v80, 0, 0x5a0, vcc_lo
	v_fma_f32 v134, v134, 2.0, -v138
	v_fma_f32 v127, v127, 2.0, -v131
	;; [unrolled: 1-line block ×4, first 2 shown]
	v_add_lshl_u32 v1, v86, v80, 3
	v_fma_f32 v108, v108, 2.0, -v112
	v_fma_f32 v109, v109, 2.0, -v113
	ds_store_2addr_b64 v245, v[91:92], v[93:94] offset0:64 offset1:160
	ds_store_2addr_b64 v201, v[98:99], v[104:105] offset0:112 offset1:208
	;; [unrolled: 1-line block ×3, first 2 shown]
	ds_store_b64 v24, v[108:109] offset:4608
	ds_store_2addr_b64 v212, v[106:107], v[112:113] offset0:48 offset1:144
	v_mov_b32_e32 v201, v212
	scratch_store_b32 off, v1, off offset:528 ; 4-byte Folded Spill
	ds_store_b64 v1, v[110:111]
	ds_store_b64 v1, v[114:115] offset:5760
	ds_store_2addr_b64 v12, v[116:117], v[118:119] offset0:80 offset1:176
	ds_store_2addr_b64 v244, v[122:123], v[128:129] offset1:96
	ds_store_2addr_b64 v235, v[124:125], v[126:127] offset0:144 offset1:240
	ds_store_2addr_b64 v7, v[130:131], v[136:137] offset0:64 offset1:160
	;; [unrolled: 1-line block ×5, first 2 shown]
	global_wb scope:SCOPE_SE
	s_wait_storecnt_dscnt 0x0
	s_barrier_signal -1
	s_barrier_wait -1
	global_inv scope:SCOPE_SE
	ds_load_2addr_b64 v[80:83], v24 offset1:96
	ds_load_2addr_b64 v[84:87], v200 offset0:64 offset1:160
	ds_load_2addr_b64 v[88:91], v235 offset1:96
	ds_load_2addr_b64 v[92:95], v9 offset0:64 offset1:160
	ds_load_2addr_b64 v[96:99], v11 offset0:64 offset1:160
	;; [unrolled: 1-line block ×6, first 2 shown]
	ds_load_2addr_b64 v[116:119], v199 offset1:96
	ds_load_2addr_b64 v[120:123], v244 offset1:96
	ds_load_2addr_b64 v[124:127], v3 offset0:64 offset1:160
	ds_load_2addr_b64 v[128:131], v7 offset0:64 offset1:160
	;; [unrolled: 1-line block ×4, first 2 shown]
	s_clause 0xe
	global_load_b64 v[211:212], v24, s[6:7] offset:11440
	global_load_b64 v[197:198], v24, s[6:7] offset:12208
	;; [unrolled: 1-line block ×15, first 2 shown]
	v_mov_b32_e32 v245, v7
	v_mov_b32_e32 v233, v237
	v_mov_b32_e32 v237, v3
	s_mul_u64 s[6:7], s[0:1], 0x1200
	s_wait_loadcnt_dscnt 0xe0d
	v_mul_f32_e32 v140, v87, v212
	v_mul_f32_e32 v141, v86, v212
	s_wait_loadcnt_dscnt 0xd0c
	v_mul_f32_e32 v143, v88, v198
	s_wait_loadcnt 0xc
	v_mul_f32_e32 v145, v90, v200
	s_wait_loadcnt_dscnt 0xa0a
	v_mul_f32_e32 v149, v98, v181
	v_fma_f32 v140, v86, v211, -v140
	s_wait_loadcnt_dscnt 0x908
	v_dual_mul_f32 v86, v89, v198 :: v_dual_mul_f32 v151, v104, v185
	s_wait_loadcnt_dscnt 0x606
	v_mul_f32_e32 v157, v114, v177
	s_wait_loadcnt_dscnt 0x504
	v_mul_f32_e32 v159, v120, v173
	v_mul_f32_e32 v153, v106, v179
	v_fma_f32 v142, v88, v197, -v86
	v_dual_mul_f32 v86, v91, v200 :: v_dual_mul_f32 v155, v112, v183
	s_wait_loadcnt_dscnt 0x202
	v_mul_f32_e32 v235, v130, v169
	s_wait_loadcnt_dscnt 0x100
	v_mul_f32_e32 v5, v136, v167
	v_mul_f32_e32 v1, v122, v175
	v_fma_f32 v144, v90, v199, -v86
	v_mul_f32_e32 v86, v97, v187
	v_mul_f32_e32 v2, v129, v171
	s_wait_loadcnt 0x0
	v_dual_mul_f32 v3, v128, v171 :: v_dual_mul_f32 v6, v139, v165
	v_mul_f32_e32 v7, v138, v165
	v_fma_f32 v146, v96, v186, -v86
	v_dual_mul_f32 v86, v99, v181 :: v_dual_mul_f32 v147, v96, v187
	v_fmac_f32_e32 v157, v115, v176
	v_fmac_f32_e32 v159, v121, v172
	;; [unrolled: 1-line block ×3, first 2 shown]
	s_delay_alu instid0(VALU_DEP_4)
	v_fma_f32 v148, v98, v180, -v86
	v_mul_f32_e32 v86, v105, v185
	v_fmac_f32_e32 v143, v89, v197
	v_fmac_f32_e32 v149, v99, v180
	;; [unrolled: 1-line block ×4, first 2 shown]
	v_fma_f32 v150, v104, v184, -v86
	v_dual_mul_f32 v86, v107, v179 :: v_dual_fmac_f32 v155, v113, v182
	v_fmac_f32_e32 v235, v131, v168
	v_fmac_f32_e32 v5, v137, v166
	v_fmac_f32_e32 v1, v123, v174
	s_delay_alu instid0(VALU_DEP_4)
	v_fma_f32 v152, v106, v178, -v86
	v_mul_f32_e32 v86, v113, v183
	v_fma_f32 v2, v128, v170, -v2
	v_fmac_f32_e32 v3, v129, v170
	v_fma_f32 v6, v138, v164, -v6
	v_fmac_f32_e32 v7, v139, v164
	v_fma_f32 v154, v112, v182, -v86
	v_mul_f32_e32 v86, v115, v177
	v_fmac_f32_e32 v145, v91, v199
	v_fmac_f32_e32 v147, v97, v186
	v_sub_f32_e32 v115, v117, v157
	v_sub_f32_e32 v87, v81, v141
	v_fma_f32 v156, v114, v176, -v86
	v_dual_mul_f32 v86, v121, v173 :: v_dual_sub_f32 v121, v119, v159
	v_dual_sub_f32 v88, v82, v142 :: v_dual_sub_f32 v89, v83, v143
	s_delay_alu instid0(VALU_DEP_3) | instskip(NEXT) | instid1(VALU_DEP_3)
	v_sub_f32_e32 v114, v116, v156
	v_fma_f32 v158, v120, v172, -v86
	v_mul_f32_e32 v86, v123, v175
	v_dual_sub_f32 v98, v100, v148 :: v_dual_sub_f32 v99, v101, v149
	v_sub_f32_e32 v104, v102, v150
	s_delay_alu instid0(VALU_DEP_4) | instskip(NEXT) | instid1(VALU_DEP_4)
	v_sub_f32_e32 v120, v118, v158
	v_fma_f32 v4, v122, v174, -v86
	v_mul_f32_e32 v86, v131, v169
	v_dual_sub_f32 v105, v103, v151 :: v_dual_sub_f32 v106, v108, v152
	v_dual_sub_f32 v107, v109, v153 :: v_dual_sub_f32 v112, v110, v154
	s_delay_alu instid0(VALU_DEP_3) | instskip(SKIP_3) | instid1(VALU_DEP_4)
	v_fma_f32 v188, v130, v168, -v86
	v_mul_f32_e32 v86, v137, v167
	v_sub_f32_e32 v113, v111, v155
	v_sub_f32_e32 v131, v133, v235
	v_dual_sub_f32 v137, v135, v5 :: v_dual_sub_f32 v130, v132, v188
	s_delay_alu instid0(VALU_DEP_4) | instskip(SKIP_3) | instid1(VALU_DEP_4)
	v_fma_f32 v0, v136, v166, -v86
	v_sub_f32_e32 v86, v80, v140
	v_dual_sub_f32 v122, v124, v4 :: v_dual_sub_f32 v123, v125, v1
	v_sub_f32_e32 v128, v126, v2
	v_dual_sub_f32 v136, v134, v0 :: v_dual_sub_f32 v129, v127, v3
	v_dual_sub_f32 v138, v84, v6 :: v_dual_sub_f32 v139, v85, v7
	;; [unrolled: 1-line block ×4, first 2 shown]
	v_fma_f32 v116, v116, 2.0, -v114
	v_fma_f32 v117, v117, 2.0, -v115
	;; [unrolled: 1-line block ×30, first 2 shown]
	ds_store_b64 v24, v[86:87] offset:11520
	ds_store_2addr_b64 v24, v[80:81], v[82:83] offset1:96
	ds_store_2addr_b64 v26, v[88:89], v[90:91] offset1:96
	ds_store_2addr_b64 v9, v[92:93], v[94:95] offset0:64 offset1:160
	ds_store_2addr_b64 v11, v[96:97], v[98:99] offset0:64 offset1:160
	;; [unrolled: 1-line block ×6, first 2 shown]
	ds_store_2addr_b64 v14, v[116:117], v[118:119] offset1:96
	ds_store_2addr_b64 v244, v[120:121], v[122:123] offset1:96
	ds_store_2addr_b64 v237, v[124:125], v[126:127] offset0:64 offset1:160
	ds_store_2addr_b64 v245, v[128:129], v[130:131] offset0:64 offset1:160
	ds_store_2addr_b64 v13, v[132:133], v[134:135] offset0:128 offset1:224
	ds_store_b64 v24, v[84:85] offset:10752
	ds_store_2addr_b64 v10, v[136:137], v[138:139] offset0:128 offset1:224
	global_wb scope:SCOPE_SE
	s_wait_dscnt 0x0
	s_barrier_signal -1
	s_barrier_wait -1
	global_inv scope:SCOPE_SE
	global_load_b64 v[84:85], v24, s[4:5] offset:23040
	ds_load_2addr_b64 v[80:83], v24 offset1:96
	v_mov_b32_e32 v1, v11
	v_dual_mov_b32 v5, v233 :: v_dual_mov_b32 v6, v245
	v_mov_b32_e32 v11, v236
	v_dual_mov_b32 v235, v10 :: v_dual_mov_b32 v188, v234
	v_mov_b32_e32 v245, v13
	v_mov_b32_e32 v233, v9
	s_mov_b32 s4, 0x16c16c17
	s_mov_b32 s5, 0x3f36c16c
	s_wait_loadcnt_dscnt 0x0
	v_mul_f32_e32 v0, v81, v85
	v_mul_f32_e32 v87, v80, v85
	s_delay_alu instid0(VALU_DEP_2) | instskip(NEXT) | instid1(VALU_DEP_2)
	v_fma_f32 v86, v80, v84, -v0
	v_fmac_f32_e32 v87, v81, v84
	global_load_b64 v[80:81], v24, s[2:3] offset:2304
	ds_store_b64 v24, v[86:87]
	ds_load_2addr_b64 v[84:87], v9 offset0:64 offset1:160
	ds_load_2addr_b64 v[90:93], v14 offset1:96
	ds_load_2addr_b64 v[96:99], v8 offset0:64 offset1:160
	ds_load_2addr_b64 v[102:105], v5 offset0:128 offset1:224
	;; [unrolled: 1-line block ×3, first 2 shown]
	s_wait_loadcnt_dscnt 0x4
	v_mul_f32_e32 v0, v87, v81
	v_mul_f32_e32 v115, v86, v81
	s_delay_alu instid0(VALU_DEP_2) | instskip(NEXT) | instid1(VALU_DEP_2)
	v_fma_f32 v114, v86, v80, -v0
	v_fmac_f32_e32 v115, v87, v80
	global_load_b64 v[80:81], v24, s[2:3] offset:4608
	ds_load_2addr_b64 v[86:89], v15 offset0:64 offset1:160
	s_wait_loadcnt_dscnt 0x0
	v_mul_f32_e32 v0, v87, v81
	v_mul_f32_e32 v117, v86, v81
	s_delay_alu instid0(VALU_DEP_2) | instskip(NEXT) | instid1(VALU_DEP_2)
	v_fma_f32 v116, v86, v80, -v0
	v_fmac_f32_e32 v117, v87, v80
	global_load_b64 v[80:81], v24, s[2:3] offset:6912
	s_wait_loadcnt 0x0
	v_mul_f32_e32 v0, v93, v81
	v_mul_f32_e32 v119, v92, v81
	s_delay_alu instid0(VALU_DEP_2) | instskip(NEXT) | instid1(VALU_DEP_2)
	v_fma_f32 v118, v92, v80, -v0
	v_fmac_f32_e32 v119, v93, v80
	global_load_b64 v[80:81], v24, s[2:3] offset:9216
	ds_load_2addr_b64 v[92:95], v13 offset0:128 offset1:224
	s_wait_loadcnt_dscnt 0x0
	v_mul_f32_e32 v0, v93, v81
	v_mul_f32_e32 v121, v92, v81
	s_delay_alu instid0(VALU_DEP_2) | instskip(NEXT) | instid1(VALU_DEP_2)
	v_fma_f32 v120, v92, v80, -v0
	v_fmac_f32_e32 v121, v93, v80
	global_load_b64 v[80:81], v24, s[2:3] offset:11520
	s_wait_loadcnt 0x0
	;; [unrolled: 15-line block ×3, first 2 shown]
	v_mul_f32_e32 v0, v105, v81
	v_mul_f32_e32 v127, v104, v81
	s_delay_alu instid0(VALU_DEP_2) | instskip(NEXT) | instid1(VALU_DEP_2)
	v_fma_f32 v126, v104, v80, -v0
	v_fmac_f32_e32 v127, v105, v80
	global_load_b64 v[80:81], v24, s[2:3] offset:18432
	ds_load_2addr_b64 v[104:107], v244 offset1:96
	s_wait_loadcnt_dscnt 0x0
	v_mul_f32_e32 v0, v105, v81
	v_mul_f32_e32 v129, v104, v81
	s_delay_alu instid0(VALU_DEP_2) | instskip(NEXT) | instid1(VALU_DEP_2)
	v_fma_f32 v128, v104, v80, -v0
	v_fmac_f32_e32 v129, v105, v80
	global_load_b64 v[80:81], v24, s[2:3] offset:20736
	s_wait_loadcnt 0x0
	v_mul_f32_e32 v0, v111, v81
	v_mul_f32_e32 v105, v110, v81
	s_delay_alu instid0(VALU_DEP_2) | instskip(NEXT) | instid1(VALU_DEP_2)
	v_fma_f32 v104, v110, v80, -v0
	v_fmac_f32_e32 v105, v111, v80
	global_load_b64 v[80:81], v24, s[2:3] offset:768
	ds_load_2addr_b64 v[110:113], v234 offset0:128 offset1:224
	s_wait_loadcnt 0x0
	v_mul_f32_e32 v0, v83, v81
	v_mul_f32_e32 v131, v82, v81
	s_delay_alu instid0(VALU_DEP_2) | instskip(NEXT) | instid1(VALU_DEP_2)
	v_fma_f32 v130, v82, v80, -v0
	v_fmac_f32_e32 v131, v83, v80
	global_load_b64 v[80:81], v24, s[2:3] offset:3072
	s_wait_loadcnt_dscnt 0x0
	v_mul_f32_e32 v0, v111, v81
	v_mul_f32_e32 v83, v110, v81
	s_delay_alu instid0(VALU_DEP_2) | instskip(NEXT) | instid1(VALU_DEP_2)
	v_fma_f32 v82, v110, v80, -v0
	v_fmac_f32_e32 v83, v111, v80
	global_load_b64 v[80:81], v24, s[2:3] offset:5376
	ds_store_2addr_b64 v234, v[114:115], v[82:83] offset0:32 offset1:128
	v_mov_b32_e32 v234, v8
	s_wait_loadcnt 0x0
	v_mul_f32_e32 v0, v89, v81
	v_mul_f32_e32 v111, v88, v81
	s_delay_alu instid0(VALU_DEP_2) | instskip(NEXT) | instid1(VALU_DEP_2)
	v_fma_f32 v110, v88, v80, -v0
	v_fmac_f32_e32 v111, v89, v80
	global_load_b64 v[80:81], v24, s[2:3] offset:7680
	ds_load_2addr_b64 v[86:89], v237 offset0:64 offset1:160
	s_wait_loadcnt_dscnt 0x0
	v_mul_f32_e32 v0, v87, v81
	v_mul_f32_e32 v83, v86, v81
	s_delay_alu instid0(VALU_DEP_2) | instskip(NEXT) | instid1(VALU_DEP_2)
	v_fma_f32 v82, v86, v80, -v0
	v_fmac_f32_e32 v83, v87, v80
	global_load_b64 v[80:81], v24, s[2:3] offset:9984
	ds_store_2addr_b64 v14, v[118:119], v[82:83] offset0:96 offset1:192
	s_wait_loadcnt 0x0
	v_mul_f32_e32 v0, v95, v81
	v_mul_f32_e32 v87, v94, v81
	s_delay_alu instid0(VALU_DEP_2) | instskip(NEXT) | instid1(VALU_DEP_2)
	v_fma_f32 v86, v94, v80, -v0
	v_fmac_f32_e32 v87, v95, v80
	global_load_b64 v[80:81], v24, s[2:3] offset:12288
	ds_load_2addr_b64 v[92:95], v26 offset1:96
	s_wait_loadcnt_dscnt 0x0
	v_mul_f32_e32 v0, v93, v81
	v_mul_f32_e32 v83, v92, v81
	s_delay_alu instid0(VALU_DEP_2) | instskip(NEXT) | instid1(VALU_DEP_2)
	v_fma_f32 v82, v92, v80, -v0
	v_fmac_f32_e32 v83, v93, v80
	global_load_b64 v[80:81], v24, s[2:3] offset:14592
	ds_store_2addr_b64 v12, v[122:123], v[82:83] offset0:32 offset1:128
	s_wait_loadcnt 0x0
	v_mul_f32_e32 v0, v101, v81
	v_mul_f32_e32 v93, v100, v81
	s_delay_alu instid0(VALU_DEP_2) | instskip(NEXT) | instid1(VALU_DEP_2)
	v_fma_f32 v92, v100, v80, -v0
	v_fmac_f32_e32 v93, v101, v80
	global_load_b64 v[80:81], v24, s[2:3] offset:16896
	ds_load_2addr_b64 v[98:101], v11 offset0:64 offset1:160
	s_wait_loadcnt_dscnt 0x0
	v_mul_f32_e32 v0, v99, v81
	v_mul_f32_e32 v83, v98, v81
	s_delay_alu instid0(VALU_DEP_2) | instskip(NEXT) | instid1(VALU_DEP_2)
	v_fma_f32 v82, v98, v80, -v0
	v_fmac_f32_e32 v83, v99, v80
	global_load_b64 v[80:81], v24, s[2:3] offset:19200
	v_add_nc_u32_e32 v0, 0x3c00, v24
	ds_store_2addr_b64 v0, v[126:127], v[82:83] offset0:96 offset1:192
	s_wait_loadcnt 0x0
	v_mul_f32_e32 v0, v107, v81
	v_mul_f32_e32 v99, v106, v81
	s_delay_alu instid0(VALU_DEP_2) | instskip(NEXT) | instid1(VALU_DEP_2)
	v_fma_f32 v98, v106, v80, -v0
	v_fmac_f32_e32 v99, v107, v80
	global_load_b64 v[106:107], v24, s[2:3] offset:21504
	ds_load_2addr_b64 v[80:83], v10 offset0:128 offset1:224
	s_wait_loadcnt_dscnt 0x0
	v_mul_f32_e32 v0, v81, v107
	v_mul_f32_e32 v115, v80, v107
	s_delay_alu instid0(VALU_DEP_2) | instskip(NEXT) | instid1(VALU_DEP_2)
	v_fma_f32 v114, v80, v106, -v0
	v_fmac_f32_e32 v115, v81, v106
	global_load_b64 v[80:81], v24, s[2:3] offset:1536
	ds_store_2addr_b64 v10, v[104:105], v[114:115] offset0:32 offset1:128
	v_mov_b32_e32 v10, v1
	s_wait_loadcnt 0x0
	v_mul_f32_e32 v0, v85, v81
	v_mul_f32_e32 v105, v84, v81
	s_delay_alu instid0(VALU_DEP_2) | instskip(NEXT) | instid1(VALU_DEP_2)
	v_fma_f32 v104, v84, v80, -v0
	v_fmac_f32_e32 v105, v85, v80
	global_load_b64 v[80:81], v24, s[2:3] offset:3840
	ds_store_2addr_b64 v24, v[130:131], v[104:105] offset0:96 offset1:192
	s_wait_loadcnt 0x0
	v_mul_f32_e32 v0, v113, v81
	v_mul_f32_e32 v85, v112, v81
	s_delay_alu instid0(VALU_DEP_2) | instskip(NEXT) | instid1(VALU_DEP_2)
	v_fma_f32 v84, v112, v80, -v0
	v_fmac_f32_e32 v85, v113, v80
	global_load_b64 v[80:81], v24, s[2:3] offset:6144
	ds_store_2addr_b64 v25, v[84:85], v[116:117] offset0:96 offset1:192
	;; [unrolled: 8-line block ×5, first 2 shown]
	s_wait_loadcnt 0x0
	v_dual_mov_b32 v201, v5 :: v_dual_mul_f32 v0, v95, v81
	v_mul_f32_e32 v85, v94, v81
	s_delay_alu instid0(VALU_DEP_2) | instskip(NEXT) | instid1(VALU_DEP_2)
	v_fma_f32 v84, v94, v80, -v0
	v_fmac_f32_e32 v85, v95, v80
	global_load_b64 v[80:81], v24, s[2:3] offset:15360
	ds_store_2addr_b64 v26, v[84:85], v[124:125] offset0:96 offset1:192
	s_wait_loadcnt 0x0
	v_mul_f32_e32 v0, v103, v81
	v_mul_f32_e32 v85, v102, v81
	s_delay_alu instid0(VALU_DEP_2) | instskip(NEXT) | instid1(VALU_DEP_2)
	v_fma_f32 v84, v102, v80, -v0
	v_fmac_f32_e32 v85, v103, v80
	global_load_b64 v[80:81], v24, s[2:3] offset:17664
	ds_store_2addr_b64 v5, v[92:93], v[84:85] offset0:32 offset1:128
	s_wait_loadcnt 0x0
	v_mul_f32_e32 v0, v101, v81
	v_mul_f32_e32 v85, v100, v81
	s_delay_alu instid0(VALU_DEP_2) | instskip(NEXT) | instid1(VALU_DEP_2)
	v_fma_f32 v84, v100, v80, -v0
	v_fmac_f32_e32 v85, v101, v80
	global_load_b64 v[80:81], v24, s[2:3] offset:19968
	v_add_nc_u32_e32 v0, 0x4400, v24
	ds_store_2addr_b64 v0, v[84:85], v[128:129] offset0:32 offset1:128
	s_wait_loadcnt 0x0
	v_mul_f32_e32 v0, v109, v81
	v_mul_f32_e32 v85, v108, v81
	s_delay_alu instid0(VALU_DEP_2) | instskip(NEXT) | instid1(VALU_DEP_2)
	v_fma_f32 v84, v108, v80, -v0
	v_fmac_f32_e32 v85, v109, v80
	global_load_b64 v[80:81], v24, s[2:3] offset:22272
	s_mul_u64 s[2:3], s[0:1], 0x900
	ds_store_2addr_b64 v244, v[98:99], v[84:85] offset0:96 offset1:192
	s_wait_loadcnt 0x0
	v_mul_f32_e32 v0, v83, v81
	v_mul_f32_e32 v85, v82, v81
	s_delay_alu instid0(VALU_DEP_2) | instskip(NEXT) | instid1(VALU_DEP_2)
	v_fma_f32 v84, v82, v80, -v0
	v_fmac_f32_e32 v85, v83, v80
	ds_store_b64 v24, v[84:85] offset:22272
	global_wb scope:SCOPE_SE
	s_wait_dscnt 0x0
	s_barrier_signal -1
	s_barrier_wait -1
	global_inv scope:SCOPE_SE
	ds_load_2addr_b64 v[100:103], v24 offset1:96
	ds_load_2addr_b64 v[80:83], v9 offset0:64 offset1:160
	ds_load_2addr_b64 v[104:107], v15 offset0:64 offset1:160
	ds_load_2addr_b64 v[144:147], v14 offset1:96
	ds_load_2addr_b64 v[108:111], v13 offset0:128 offset1:224
	ds_load_2addr_b64 v[148:151], v8 offset0:64 offset1:160
	;; [unrolled: 1-line block ×4, first 2 shown]
	ds_load_2addr_b64 v[116:119], v244 offset1:96
	ds_load_2addr_b64 v[156:159], v6 offset0:64 offset1:160
	v_mov_b32_e32 v8, v6
	ds_load_2addr_b64 v[84:87], v188 offset0:128 offset1:224
	ds_load_2addr_b64 v[88:91], v237 offset0:64 offset1:160
	ds_load_2addr_b64 v[92:95], v26 offset1:96
	ds_load_2addr_b64 v[96:99], v11 offset0:64 offset1:160
	ds_load_2addr_b64 v[140:143], v235 offset0:128 offset1:224
	global_wb scope:SCOPE_SE
	s_wait_dscnt 0x0
	s_barrier_signal -1
	s_barrier_wait -1
	global_inv scope:SCOPE_SE
	v_add_f32_e32 v0, v100, v104
	v_sub_f32_e32 v2, v104, v108
	v_dual_sub_f32 v4, v108, v104 :: v_dual_sub_f32 v1, v109, v113
	s_delay_alu instid0(VALU_DEP_3) | instskip(SKIP_3) | instid1(VALU_DEP_4)
	v_add_f32_e32 v0, v0, v108
	v_sub_f32_e32 v3, v116, v112
	v_sub_f32_e32 v5, v112, v116
	v_dual_sub_f32 v6, v108, v112 :: v_dual_sub_f32 v7, v105, v109
	v_add_f32_e32 v0, v0, v112
	s_delay_alu instid0(VALU_DEP_4) | instskip(NEXT) | instid1(VALU_DEP_4)
	v_add_f32_e32 v2, v2, v3
	v_add_f32_e32 v4, v4, v5
	v_sub_f32_e32 v120, v155, v159
	s_delay_alu instid0(VALU_DEP_4) | instskip(SKIP_3) | instid1(VALU_DEP_3)
	v_add_f32_e32 v122, v0, v116
	v_add_f32_e32 v0, v108, v112
	v_sub_f32_e32 v108, v146, v150
	v_sub_f32_e32 v112, v154, v158
	v_fma_f32 v123, -0.5, v0, v100
	v_sub_f32_e32 v0, v105, v117
	s_delay_alu instid0(VALU_DEP_1) | instskip(SKIP_1) | instid1(VALU_DEP_2)
	v_fmamk_f32 v132, v0, 0xbf737871, v123
	v_fmac_f32_e32 v123, 0x3f737871, v0
	v_fmac_f32_e32 v132, 0xbf167918, v1
	s_delay_alu instid0(VALU_DEP_2) | instskip(NEXT) | instid1(VALU_DEP_2)
	v_fmac_f32_e32 v123, 0x3f167918, v1
	v_fmac_f32_e32 v132, 0x3e9e377a, v2
	s_delay_alu instid0(VALU_DEP_2) | instskip(NEXT) | instid1(VALU_DEP_1)
	v_dual_fmac_f32 v123, 0x3e9e377a, v2 :: v_dual_add_f32 v2, v104, v116
	v_fma_f32 v2, -0.5, v2, v100
	v_sub_f32_e32 v100, v117, v113
	s_delay_alu instid0(VALU_DEP_2) | instskip(SKIP_2) | instid1(VALU_DEP_4)
	v_fmamk_f32 v3, v1, 0x3f737871, v2
	v_fmac_f32_e32 v2, 0xbf737871, v1
	v_add_f32_e32 v1, v109, v113
	v_add_f32_e32 v7, v7, v100
	s_delay_alu instid0(VALU_DEP_4) | instskip(NEXT) | instid1(VALU_DEP_4)
	v_fmac_f32_e32 v3, 0xbf167918, v0
	v_fmac_f32_e32 v2, 0x3f167918, v0
	s_delay_alu instid0(VALU_DEP_4) | instskip(NEXT) | instid1(VALU_DEP_3)
	v_fma_f32 v1, -0.5, v1, v101
	v_dual_add_f32 v0, v101, v105 :: v_dual_fmac_f32 v3, 0x3e9e377a, v4
	s_delay_alu instid0(VALU_DEP_3) | instskip(SKIP_2) | instid1(VALU_DEP_4)
	v_fmac_f32_e32 v2, 0x3e9e377a, v4
	v_sub_f32_e32 v4, v104, v116
	v_sub_f32_e32 v104, v113, v117
	v_add_f32_e32 v0, v0, v109
	s_delay_alu instid0(VALU_DEP_3) | instskip(NEXT) | instid1(VALU_DEP_2)
	v_dual_sub_f32 v116, v147, v151 :: v_dual_fmamk_f32 v5, v4, 0x3f737871, v1
	v_dual_fmac_f32 v1, 0xbf737871, v4 :: v_dual_add_f32 v0, v0, v113
	v_sub_f32_e32 v113, v150, v154
	s_delay_alu instid0(VALU_DEP_3) | instskip(NEXT) | instid1(VALU_DEP_3)
	v_fmac_f32_e32 v5, 0x3f167918, v6
	v_dual_fmac_f32 v1, 0xbf167918, v6 :: v_dual_add_f32 v0, v0, v117
	s_delay_alu instid0(VALU_DEP_2) | instskip(NEXT) | instid1(VALU_DEP_2)
	v_fmac_f32_e32 v5, 0x3e9e377a, v7
	v_fmac_f32_e32 v1, 0x3e9e377a, v7
	v_add_f32_e32 v7, v105, v117
	v_sub_f32_e32 v117, v159, v155
	s_delay_alu instid0(VALU_DEP_2) | instskip(SKIP_2) | instid1(VALU_DEP_4)
	v_fma_f32 v7, -0.5, v7, v101
	v_sub_f32_e32 v101, v109, v105
	v_sub_f32_e32 v105, v151, v155
	v_dual_sub_f32 v109, v158, v154 :: v_dual_add_f32 v116, v116, v117
	s_delay_alu instid0(VALU_DEP_4) | instskip(SKIP_2) | instid1(VALU_DEP_4)
	v_fmamk_f32 v100, v6, 0xbf737871, v7
	v_fmac_f32_e32 v7, 0x3f737871, v6
	v_dual_add_f32 v101, v101, v104 :: v_dual_add_f32 v6, v150, v154
	v_add_f32_e32 v108, v108, v109
	s_delay_alu instid0(VALU_DEP_4) | instskip(NEXT) | instid1(VALU_DEP_4)
	v_fmac_f32_e32 v100, 0x3f167918, v4
	v_dual_fmac_f32 v7, 0xbf167918, v4 :: v_dual_add_f32 v4, v82, v146
	s_delay_alu instid0(VALU_DEP_4) | instskip(NEXT) | instid1(VALU_DEP_3)
	v_fma_f32 v6, -0.5, v6, v82
	v_dual_sub_f32 v109, v150, v146 :: v_dual_fmac_f32 v100, 0x3e9e377a, v101
	s_delay_alu instid0(VALU_DEP_3) | instskip(SKIP_2) | instid1(VALU_DEP_4)
	v_fmac_f32_e32 v7, 0x3e9e377a, v101
	v_sub_f32_e32 v101, v147, v159
	v_sub_f32_e32 v117, v151, v147
	v_dual_add_f32 v109, v109, v112 :: v_dual_add_f32 v4, v4, v150
	s_delay_alu instid0(VALU_DEP_3) | instskip(NEXT) | instid1(VALU_DEP_3)
	v_fmamk_f32 v104, v101, 0xbf737871, v6
	v_dual_fmac_f32 v6, 0x3f737871, v101 :: v_dual_add_f32 v117, v117, v120
	s_delay_alu instid0(VALU_DEP_3) | instskip(NEXT) | instid1(VALU_DEP_3)
	v_add_f32_e32 v4, v4, v154
	v_fmac_f32_e32 v104, 0xbf167918, v105
	s_delay_alu instid0(VALU_DEP_3) | instskip(NEXT) | instid1(VALU_DEP_3)
	v_fmac_f32_e32 v6, 0x3f167918, v105
	v_add_f32_e32 v4, v4, v158
	s_delay_alu instid0(VALU_DEP_3) | instskip(NEXT) | instid1(VALU_DEP_3)
	v_fmac_f32_e32 v104, 0x3e9e377a, v108
	v_fmac_f32_e32 v6, 0x3e9e377a, v108
	v_add_f32_e32 v108, v146, v158
	s_delay_alu instid0(VALU_DEP_4) | instskip(SKIP_2) | instid1(VALU_DEP_4)
	v_add_f32_e32 v124, v122, v4
	v_sub_f32_e32 v122, v122, v4
	v_sub_f32_e32 v4, v111, v115
	v_fma_f32 v82, -0.5, v108, v82
	s_delay_alu instid0(VALU_DEP_1) | instskip(SKIP_1) | instid1(VALU_DEP_2)
	v_fmamk_f32 v108, v105, 0x3f737871, v82
	v_dual_fmac_f32 v82, 0xbf737871, v105 :: v_dual_add_f32 v105, v151, v155
	v_fmac_f32_e32 v108, 0xbf167918, v101
	s_delay_alu instid0(VALU_DEP_2) | instskip(NEXT) | instid1(VALU_DEP_3)
	v_fmac_f32_e32 v82, 0x3f167918, v101
	v_fma_f32 v105, -0.5, v105, v83
	s_delay_alu instid0(VALU_DEP_3) | instskip(NEXT) | instid1(VALU_DEP_3)
	v_dual_add_f32 v101, v83, v147 :: v_dual_fmac_f32 v108, 0x3e9e377a, v109
	v_dual_fmac_f32 v82, 0x3e9e377a, v109 :: v_dual_sub_f32 v109, v146, v158
	s_delay_alu instid0(VALU_DEP_2) | instskip(NEXT) | instid1(VALU_DEP_2)
	v_add_f32_e32 v101, v101, v151
	v_fmamk_f32 v112, v109, 0x3f737871, v105
	v_fmac_f32_e32 v105, 0xbf737871, v109
	s_delay_alu instid0(VALU_DEP_2) | instskip(NEXT) | instid1(VALU_DEP_2)
	v_dual_add_f32 v101, v101, v155 :: v_dual_fmac_f32 v112, 0x3f167918, v113
	v_fmac_f32_e32 v105, 0xbf167918, v113
	s_delay_alu instid0(VALU_DEP_2) | instskip(NEXT) | instid1(VALU_DEP_2)
	v_dual_add_f32 v101, v101, v159 :: v_dual_fmac_f32 v112, 0x3e9e377a, v116
	v_dual_fmac_f32 v105, 0x3e9e377a, v116 :: v_dual_add_f32 v116, v147, v159
	s_delay_alu instid0(VALU_DEP_2) | instskip(NEXT) | instid1(VALU_DEP_2)
	v_add_f32_e32 v125, v0, v101
	v_mul_f32_e32 v133, 0xbf167918, v105
	s_delay_alu instid0(VALU_DEP_3) | instskip(NEXT) | instid1(VALU_DEP_2)
	v_fma_f32 v83, -0.5, v116, v83
	v_fmac_f32_e32 v133, 0xbf4f1bbd, v6
	s_delay_alu instid0(VALU_DEP_2) | instskip(SKIP_1) | instid1(VALU_DEP_3)
	v_fmamk_f32 v116, v113, 0xbf737871, v83
	v_fmac_f32_e32 v83, 0x3f737871, v113
	v_add_f32_e32 v120, v123, v133
	s_delay_alu instid0(VALU_DEP_3) | instskip(NEXT) | instid1(VALU_DEP_3)
	v_fmac_f32_e32 v116, 0x3f167918, v109
	v_fmac_f32_e32 v83, 0xbf167918, v109
	v_dual_mul_f32 v109, 0xbf167918, v112 :: v_dual_sub_f32 v134, v123, v133
	v_sub_f32_e32 v123, v0, v101
	s_delay_alu instid0(VALU_DEP_4) | instskip(NEXT) | instid1(VALU_DEP_4)
	v_fmac_f32_e32 v116, 0x3e9e377a, v117
	v_fmac_f32_e32 v83, 0x3e9e377a, v117
	s_delay_alu instid0(VALU_DEP_4) | instskip(SKIP_1) | instid1(VALU_DEP_4)
	v_fmac_f32_e32 v109, 0x3f4f1bbd, v104
	v_dual_mul_f32 v104, 0x3f167918, v104 :: v_dual_sub_f32 v101, v119, v115
	v_mul_f32_e32 v113, 0xbf737871, v116
	s_delay_alu instid0(VALU_DEP_4) | instskip(NEXT) | instid1(VALU_DEP_4)
	v_mul_f32_e32 v117, 0xbf737871, v83
	v_dual_mul_f32 v83, 0xbe9e377a, v83 :: v_dual_add_f32 v126, v132, v109
	s_delay_alu instid0(VALU_DEP_4) | instskip(NEXT) | instid1(VALU_DEP_4)
	v_fmac_f32_e32 v104, 0x3f4f1bbd, v112
	v_fmac_f32_e32 v113, 0x3e9e377a, v108
	s_delay_alu instid0(VALU_DEP_4) | instskip(NEXT) | instid1(VALU_DEP_4)
	v_fmac_f32_e32 v117, 0xbe9e377a, v82
	v_fmac_f32_e32 v83, 0x3f737871, v82
	v_mul_f32_e32 v82, 0xbf4f1bbd, v105
	v_sub_f32_e32 v136, v132, v109
	v_add_f32_e32 v128, v3, v113
	v_add_f32_e32 v130, v2, v117
	v_sub_f32_e32 v132, v2, v117
	v_fmac_f32_e32 v82, 0x3f167918, v6
	v_dual_sub_f32 v2, v107, v119 :: v_dual_add_f32 v127, v5, v104
	v_dual_sub_f32 v138, v3, v113 :: v_dual_sub_f32 v137, v5, v104
	s_delay_alu instid0(VALU_DEP_3)
	v_add_f32_e32 v121, v1, v82
	v_sub_f32_e32 v135, v1, v82
	v_add_f32_e32 v1, v110, v114
	v_sub_f32_e32 v5, v106, v110
	v_dual_sub_f32 v6, v118, v114 :: v_dual_add_f32 v131, v7, v83
	v_sub_f32_e32 v133, v7, v83
	s_delay_alu instid0(VALU_DEP_4) | instskip(SKIP_1) | instid1(VALU_DEP_4)
	v_fma_f32 v1, -0.5, v1, v102
	v_sub_f32_e32 v7, v110, v106
	v_add_f32_e32 v5, v5, v6
	v_sub_f32_e32 v82, v114, v118
	v_mul_f32_e32 v112, 0x3e9e377a, v116
	v_fmamk_f32 v3, v2, 0xbf737871, v1
	v_fmac_f32_e32 v1, 0x3f737871, v2
	v_sub_f32_e32 v83, v110, v114
	s_delay_alu instid0(VALU_DEP_4) | instskip(NEXT) | instid1(VALU_DEP_4)
	v_dual_add_f32 v7, v7, v82 :: v_dual_fmac_f32 v112, 0x3f737871, v108
	v_fmac_f32_e32 v3, 0xbf167918, v4
	s_delay_alu instid0(VALU_DEP_4) | instskip(NEXT) | instid1(VALU_DEP_3)
	v_dual_fmac_f32 v1, 0x3f167918, v4 :: v_dual_add_f32 v0, v102, v106
	v_dual_sub_f32 v104, v93, v97 :: v_dual_add_f32 v129, v100, v112
	s_delay_alu instid0(VALU_DEP_3) | instskip(NEXT) | instid1(VALU_DEP_3)
	v_fmac_f32_e32 v3, 0x3e9e377a, v5
	v_fmac_f32_e32 v1, 0x3e9e377a, v5
	v_add_f32_e32 v5, v106, v118
	v_dual_sub_f32 v139, v100, v112 :: v_dual_sub_f32 v100, v107, v111
	v_sub_f32_e32 v105, v88, v92
	v_add_f32_e32 v0, v0, v110
	s_delay_alu instid0(VALU_DEP_4)
	v_fma_f32 v5, -0.5, v5, v102
	v_sub_f32_e32 v102, v115, v119
	v_add_f32_e32 v100, v100, v101
	ds_store_b128 v27, v[124:127]
	ds_store_b128 v27, v[128:131] offset:16
	ds_store_b128 v27, v[120:123] offset:32
	;; [unrolled: 1-line block ×4, first 2 shown]
	v_add_f32_e32 v0, v0, v114
	v_fmamk_f32 v6, v4, 0x3f737871, v5
	v_dual_fmac_f32 v5, 0xbf737871, v4 :: v_dual_add_f32 v4, v111, v115
	s_delay_alu instid0(VALU_DEP_3) | instskip(NEXT) | instid1(VALU_DEP_3)
	v_add_f32_e32 v0, v0, v118
	v_fmac_f32_e32 v6, 0xbf167918, v2
	s_delay_alu instid0(VALU_DEP_3) | instskip(NEXT) | instid1(VALU_DEP_4)
	v_fmac_f32_e32 v5, 0x3f167918, v2
	v_fma_f32 v4, -0.5, v4, v103
	v_add_f32_e32 v2, v103, v107
	s_delay_alu instid0(VALU_DEP_4) | instskip(NEXT) | instid1(VALU_DEP_4)
	v_fmac_f32_e32 v6, 0x3e9e377a, v7
	v_fmac_f32_e32 v5, 0x3e9e377a, v7
	v_dual_sub_f32 v7, v106, v118 :: v_dual_sub_f32 v106, v140, v96
	s_delay_alu instid0(VALU_DEP_4) | instskip(NEXT) | instid1(VALU_DEP_2)
	v_add_f32_e32 v2, v2, v111
	v_fmamk_f32 v82, v7, 0x3f737871, v4
	s_delay_alu instid0(VALU_DEP_3) | instskip(SKIP_1) | instid1(VALU_DEP_4)
	v_dual_fmac_f32 v4, 0xbf737871, v7 :: v_dual_add_f32 v105, v105, v106
	v_sub_f32_e32 v106, v92, v88
	v_add_f32_e32 v2, v2, v115
	s_delay_alu instid0(VALU_DEP_4) | instskip(NEXT) | instid1(VALU_DEP_4)
	v_fmac_f32_e32 v82, 0x3f167918, v83
	v_fmac_f32_e32 v4, 0xbf167918, v83
	s_delay_alu instid0(VALU_DEP_3) | instskip(NEXT) | instid1(VALU_DEP_3)
	v_add_f32_e32 v2, v2, v119
	v_fmac_f32_e32 v82, 0x3e9e377a, v100
	s_delay_alu instid0(VALU_DEP_3) | instskip(SKIP_1) | instid1(VALU_DEP_1)
	v_fmac_f32_e32 v4, 0x3e9e377a, v100
	v_add_f32_e32 v100, v107, v119
	v_dual_fmac_f32 v103, -0.5, v100 :: v_dual_sub_f32 v100, v111, v107
	v_sub_f32_e32 v107, v96, v140
	s_delay_alu instid0(VALU_DEP_2) | instskip(NEXT) | instid1(VALU_DEP_3)
	v_fmamk_f32 v101, v83, 0xbf737871, v103
	v_dual_fmac_f32 v103, 0x3f737871, v83 :: v_dual_add_f32 v100, v100, v102
	s_delay_alu instid0(VALU_DEP_3) | instskip(NEXT) | instid1(VALU_DEP_3)
	v_dual_add_f32 v83, v92, v96 :: v_dual_add_f32 v106, v106, v107
	v_fmac_f32_e32 v101, 0x3f167918, v7
	s_delay_alu instid0(VALU_DEP_3) | instskip(SKIP_1) | instid1(VALU_DEP_4)
	v_fmac_f32_e32 v103, 0xbf167918, v7
	v_add_f32_e32 v7, v84, v88
	v_fma_f32 v83, -0.5, v83, v84
	s_delay_alu instid0(VALU_DEP_4) | instskip(NEXT) | instid1(VALU_DEP_4)
	v_fmac_f32_e32 v101, 0x3e9e377a, v100
	v_dual_fmac_f32 v103, 0x3e9e377a, v100 :: v_dual_sub_f32 v100, v89, v141
	s_delay_alu instid0(VALU_DEP_4) | instskip(SKIP_1) | instid1(VALU_DEP_3)
	v_add_f32_e32 v7, v7, v92
	v_sub_f32_e32 v92, v92, v96
	v_fmamk_f32 v102, v100, 0xbf737871, v83
	v_fmac_f32_e32 v83, 0x3f737871, v100
	s_delay_alu instid0(VALU_DEP_4) | instskip(NEXT) | instid1(VALU_DEP_3)
	v_dual_add_f32 v7, v7, v96 :: v_dual_sub_f32 v96, v89, v93
	v_fmac_f32_e32 v102, 0xbf167918, v104
	s_delay_alu instid0(VALU_DEP_3) | instskip(NEXT) | instid1(VALU_DEP_2)
	v_fmac_f32_e32 v83, 0x3f167918, v104
	v_dual_add_f32 v7, v7, v140 :: v_dual_fmac_f32 v102, 0x3e9e377a, v105
	s_delay_alu instid0(VALU_DEP_2) | instskip(SKIP_2) | instid1(VALU_DEP_4)
	v_fmac_f32_e32 v83, 0x3e9e377a, v105
	v_add_f32_e32 v105, v88, v140
	v_sub_f32_e32 v88, v88, v140
	v_add_f32_e32 v116, v0, v7
	s_delay_alu instid0(VALU_DEP_3) | instskip(NEXT) | instid1(VALU_DEP_1)
	v_fma_f32 v84, -0.5, v105, v84
	v_fmamk_f32 v105, v104, 0x3f737871, v84
	v_fmac_f32_e32 v84, 0xbf737871, v104
	s_delay_alu instid0(VALU_DEP_2) | instskip(NEXT) | instid1(VALU_DEP_2)
	v_dual_sub_f32 v104, v141, v97 :: v_dual_fmac_f32 v105, 0xbf167918, v100
	v_fmac_f32_e32 v84, 0x3f167918, v100
	v_add_f32_e32 v100, v85, v89
	s_delay_alu instid0(VALU_DEP_3) | instskip(NEXT) | instid1(VALU_DEP_3)
	v_dual_add_f32 v96, v96, v104 :: v_dual_fmac_f32 v105, 0x3e9e377a, v106
	v_fmac_f32_e32 v84, 0x3e9e377a, v106
	s_delay_alu instid0(VALU_DEP_3) | instskip(NEXT) | instid1(VALU_DEP_1)
	v_add_f32_e32 v100, v100, v93
	v_add_f32_e32 v100, v100, v97
	s_delay_alu instid0(VALU_DEP_1) | instskip(NEXT) | instid1(VALU_DEP_1)
	v_add_f32_e32 v107, v100, v141
	v_dual_add_f32 v100, v93, v97 :: v_dual_add_f32 v117, v2, v107
	s_delay_alu instid0(VALU_DEP_1) | instskip(SKIP_1) | instid1(VALU_DEP_2)
	v_fma_f32 v100, -0.5, v100, v85
	v_dual_sub_f32 v107, v2, v107 :: v_dual_sub_f32 v2, v145, v157
	v_fmamk_f32 v106, v88, 0x3f737871, v100
	v_fmac_f32_e32 v100, 0xbf737871, v88
	s_delay_alu instid0(VALU_DEP_2) | instskip(NEXT) | instid1(VALU_DEP_2)
	v_fmac_f32_e32 v106, 0x3f167918, v92
	v_fmac_f32_e32 v100, 0xbf167918, v92
	s_delay_alu instid0(VALU_DEP_2) | instskip(NEXT) | instid1(VALU_DEP_2)
	v_fmac_f32_e32 v106, 0x3e9e377a, v96
	v_fmac_f32_e32 v100, 0x3e9e377a, v96
	v_add_f32_e32 v96, v89, v141
	v_sub_f32_e32 v89, v93, v89
	v_sub_f32_e32 v93, v97, v141
	v_mul_f32_e32 v97, 0x3f167918, v102
	s_delay_alu instid0(VALU_DEP_4) | instskip(NEXT) | instid1(VALU_DEP_3)
	v_fma_f32 v85, -0.5, v96, v85
	v_add_f32_e32 v89, v89, v93
	v_mul_f32_e32 v93, 0xbf167918, v100
	s_delay_alu instid0(VALU_DEP_4) | instskip(NEXT) | instid1(VALU_DEP_4)
	v_fmac_f32_e32 v97, 0x3f4f1bbd, v106
	v_fmamk_f32 v96, v92, 0xbf737871, v85
	v_fmac_f32_e32 v85, 0x3f737871, v92
	s_delay_alu instid0(VALU_DEP_4) | instskip(NEXT) | instid1(VALU_DEP_3)
	v_fmac_f32_e32 v93, 0xbf4f1bbd, v83
	v_dual_add_f32 v119, v82, v97 :: v_dual_fmac_f32 v96, 0x3f167918, v88
	s_delay_alu instid0(VALU_DEP_3) | instskip(NEXT) | instid1(VALU_DEP_3)
	v_dual_fmac_f32 v85, 0xbf167918, v88 :: v_dual_mul_f32 v88, 0xbf167918, v106
	v_add_f32_e32 v104, v1, v93
	v_sub_f32_e32 v106, v0, v7
	s_delay_alu instid0(VALU_DEP_4) | instskip(NEXT) | instid1(VALU_DEP_4)
	v_fmac_f32_e32 v96, 0x3e9e377a, v89
	v_fmac_f32_e32 v85, 0x3e9e377a, v89
	;; [unrolled: 1-line block ×3, first 2 shown]
	v_dual_sub_f32 v102, v1, v93 :: v_dual_add_f32 v1, v148, v152
	s_delay_alu instid0(VALU_DEP_3) | instskip(SKIP_2) | instid1(VALU_DEP_4)
	v_dual_mul_f32 v89, 0xbf737871, v96 :: v_dual_mul_f32 v92, 0xbf737871, v85
	v_mul_f32_e32 v85, 0xbe9e377a, v85
	v_mul_f32_e32 v96, 0x3e9e377a, v96
	v_fma_f32 v1, -0.5, v1, v80
	s_delay_alu instid0(VALU_DEP_4)
	v_fmac_f32_e32 v89, 0x3e9e377a, v105
	v_fmac_f32_e32 v92, 0xbe9e377a, v84
	;; [unrolled: 1-line block ×3, first 2 shown]
	v_mul_f32_e32 v84, 0xbf4f1bbd, v100
	v_fmac_f32_e32 v96, 0x3f737871, v105
	v_add_f32_e32 v118, v3, v88
	v_add_f32_e32 v112, v6, v89
	;; [unrolled: 1-line block ×3, first 2 shown]
	s_delay_alu instid0(VALU_DEP_4) | instskip(SKIP_2) | instid1(VALU_DEP_3)
	v_dual_fmac_f32 v84, 0x3f167918, v83 :: v_dual_add_f32 v113, v101, v96
	v_add_f32_e32 v115, v103, v85
	v_sub_f32_e32 v108, v3, v88
	v_dual_sub_f32 v110, v6, v89 :: v_dual_add_f32 v105, v4, v84
	v_sub_f32_e32 v100, v5, v92
	v_sub_f32_e32 v111, v101, v96
	;; [unrolled: 1-line block ×4, first 2 shown]
	v_dual_fmamk_f32 v3, v2, 0xbf737871, v1 :: v_dual_sub_f32 v4, v149, v153
	v_sub_f32_e32 v5, v144, v148
	v_dual_sub_f32 v6, v156, v152 :: v_dual_fmac_f32 v1, 0x3f737871, v2
	v_add_f32_e32 v0, v80, v144
	s_delay_alu instid0(VALU_DEP_4) | instskip(SKIP_1) | instid1(VALU_DEP_4)
	v_fmac_f32_e32 v3, 0xbf167918, v4
	v_sub_f32_e32 v7, v148, v144
	v_add_f32_e32 v5, v5, v6
	v_fmac_f32_e32 v1, 0x3f167918, v4
	v_sub_f32_e32 v109, v82, v97
	v_sub_f32_e32 v82, v145, v149
	;; [unrolled: 1-line block ×3, first 2 shown]
	v_fmac_f32_e32 v3, 0x3e9e377a, v5
	v_fmac_f32_e32 v1, 0x3e9e377a, v5
	v_dual_add_f32 v5, v144, v156 :: v_dual_sub_f32 v88, v90, v94
	s_delay_alu instid0(VALU_DEP_4) | instskip(SKIP_1) | instid1(VALU_DEP_3)
	v_add_f32_e32 v82, v82, v84
	v_dual_sub_f32 v84, v153, v157 :: v_dual_sub_f32 v89, v142, v98
	v_fma_f32 v5, -0.5, v5, v80
	v_sub_f32_e32 v80, v152, v156
	v_dual_sub_f32 v92, v98, v142 :: v_dual_sub_f32 v93, v91, v95
	s_delay_alu instid0(VALU_DEP_4) | instskip(NEXT) | instid1(VALU_DEP_4)
	v_add_f32_e32 v88, v88, v89
	v_fmamk_f32 v6, v4, 0x3f737871, v5
	v_fmac_f32_e32 v5, 0xbf737871, v4
	v_dual_add_f32 v7, v7, v80 :: v_dual_add_f32 v4, v149, v153
	v_sub_f32_e32 v80, v148, v152
	s_delay_alu instid0(VALU_DEP_4) | instskip(NEXT) | instid1(VALU_DEP_4)
	v_fmac_f32_e32 v6, 0xbf167918, v2
	v_dual_fmac_f32 v5, 0x3f167918, v2 :: v_dual_add_f32 v2, v81, v145
	s_delay_alu instid0(VALU_DEP_4) | instskip(NEXT) | instid1(VALU_DEP_3)
	v_fma_f32 v4, -0.5, v4, v81
	v_dual_sub_f32 v89, v94, v90 :: v_dual_fmac_f32 v6, 0x3e9e377a, v7
	s_delay_alu instid0(VALU_DEP_3) | instskip(SKIP_2) | instid1(VALU_DEP_4)
	v_fmac_f32_e32 v5, 0x3e9e377a, v7
	v_sub_f32_e32 v7, v144, v156
	v_add_f32_e32 v0, v0, v148
	v_dual_add_f32 v89, v89, v92 :: v_dual_sub_f32 v92, v94, v98
	s_delay_alu instid0(VALU_DEP_3) | instskip(SKIP_1) | instid1(VALU_DEP_4)
	v_dual_add_f32 v2, v2, v149 :: v_dual_fmamk_f32 v83, v7, 0x3f737871, v4
	v_fmac_f32_e32 v4, 0xbf737871, v7
	v_add_f32_e32 v0, v0, v152
	v_mov_b32_e32 v152, v11
	s_delay_alu instid0(VALU_DEP_4) | instskip(NEXT) | instid1(VALU_DEP_4)
	v_dual_add_f32 v2, v2, v153 :: v_dual_fmac_f32 v83, 0x3f167918, v80
	v_fmac_f32_e32 v4, 0xbf167918, v80
	s_delay_alu instid0(VALU_DEP_4) | instskip(NEXT) | instid1(VALU_DEP_3)
	v_add_f32_e32 v0, v0, v156
	v_dual_add_f32 v2, v2, v157 :: v_dual_fmac_f32 v83, 0x3e9e377a, v82
	s_delay_alu instid0(VALU_DEP_3) | instskip(SKIP_1) | instid1(VALU_DEP_1)
	v_fmac_f32_e32 v4, 0x3e9e377a, v82
	v_add_f32_e32 v82, v145, v157
	v_dual_fmac_f32 v81, -0.5, v82 :: v_dual_mov_b32 v236, v14
	v_dual_sub_f32 v82, v149, v145 :: v_dual_mov_b32 v149, v15
	s_delay_alu instid0(VALU_DEP_2) | instskip(SKIP_1) | instid1(VALU_DEP_3)
	v_fmamk_f32 v140, v80, 0xbf737871, v81
	v_fmac_f32_e32 v81, 0x3f737871, v80
	v_add_f32_e32 v82, v82, v84
	v_add_f32_e32 v80, v94, v98
	v_sub_f32_e32 v84, v95, v99
	v_fmac_f32_e32 v140, 0x3f167918, v7
	v_fmac_f32_e32 v81, 0xbf167918, v7
	v_add_f32_e32 v7, v86, v90
	v_fma_f32 v80, -0.5, v80, v86
	s_delay_alu instid0(VALU_DEP_4) | instskip(NEXT) | instid1(VALU_DEP_4)
	v_fmac_f32_e32 v140, 0x3e9e377a, v82
	v_dual_fmac_f32 v81, 0x3e9e377a, v82 :: v_dual_sub_f32 v82, v91, v143
	s_delay_alu instid0(VALU_DEP_4) | instskip(NEXT) | instid1(VALU_DEP_2)
	v_add_f32_e32 v7, v7, v94
	v_dual_sub_f32 v94, v143, v99 :: v_dual_fmamk_f32 v85, v82, 0xbf737871, v80
	v_fmac_f32_e32 v80, 0x3f737871, v82
	s_delay_alu instid0(VALU_DEP_2) | instskip(NEXT) | instid1(VALU_DEP_4)
	v_dual_add_f32 v93, v93, v94 :: v_dual_sub_f32 v94, v99, v143
	v_add_f32_e32 v7, v7, v98
	s_delay_alu instid0(VALU_DEP_4) | instskip(NEXT) | instid1(VALU_DEP_2)
	v_fmac_f32_e32 v85, 0xbf167918, v84
	v_dual_fmac_f32 v80, 0x3f167918, v84 :: v_dual_add_f32 v7, v7, v142
	s_delay_alu instid0(VALU_DEP_2) | instskip(NEXT) | instid1(VALU_DEP_2)
	v_fmac_f32_e32 v85, 0x3e9e377a, v88
	v_fmac_f32_e32 v80, 0x3e9e377a, v88
	v_add_f32_e32 v88, v90, v142
	s_delay_alu instid0(VALU_DEP_4) | instskip(NEXT) | instid1(VALU_DEP_4)
	v_add_f32_e32 v96, v0, v7
	v_mul_f32_e32 v144, 0x3f167918, v85
	s_delay_alu instid0(VALU_DEP_3) | instskip(NEXT) | instid1(VALU_DEP_1)
	v_fma_f32 v86, -0.5, v88, v86
	v_fmamk_f32 v88, v84, 0x3f737871, v86
	v_fmac_f32_e32 v86, 0xbf737871, v84
	v_sub_f32_e32 v84, v90, v142
	s_delay_alu instid0(VALU_DEP_3) | instskip(NEXT) | instid1(VALU_DEP_3)
	v_fmac_f32_e32 v88, 0xbf167918, v82
	v_fmac_f32_e32 v86, 0x3f167918, v82
	v_add_f32_e32 v82, v87, v91
	s_delay_alu instid0(VALU_DEP_3) | instskip(NEXT) | instid1(VALU_DEP_3)
	v_fmac_f32_e32 v88, 0x3e9e377a, v89
	v_fmac_f32_e32 v86, 0x3e9e377a, v89
	s_delay_alu instid0(VALU_DEP_3) | instskip(NEXT) | instid1(VALU_DEP_1)
	v_add_f32_e32 v82, v82, v95
	v_add_f32_e32 v82, v82, v99
	s_delay_alu instid0(VALU_DEP_1) | instskip(NEXT) | instid1(VALU_DEP_1)
	v_add_f32_e32 v89, v82, v143
	v_dual_add_f32 v82, v95, v99 :: v_dual_add_f32 v97, v2, v89
	s_delay_alu instid0(VALU_DEP_1) | instskip(NEXT) | instid1(VALU_DEP_1)
	v_fma_f32 v82, -0.5, v82, v87
	v_fmamk_f32 v90, v84, 0x3f737871, v82
	v_fmac_f32_e32 v82, 0xbf737871, v84
	s_delay_alu instid0(VALU_DEP_2) | instskip(NEXT) | instid1(VALU_DEP_2)
	v_fmac_f32_e32 v90, 0x3f167918, v92
	v_fmac_f32_e32 v82, 0xbf167918, v92
	s_delay_alu instid0(VALU_DEP_2) | instskip(NEXT) | instid1(VALU_DEP_2)
	v_fmac_f32_e32 v90, 0x3e9e377a, v93
	v_dual_fmac_f32 v82, 0x3e9e377a, v93 :: v_dual_add_f32 v93, v91, v143
	s_delay_alu instid0(VALU_DEP_2) | instskip(NEXT) | instid1(VALU_DEP_2)
	v_dual_sub_f32 v91, v95, v91 :: v_dual_fmac_f32 v144, 0x3f4f1bbd, v90
	v_mul_f32_e32 v143, 0xbf167918, v82
	s_delay_alu instid0(VALU_DEP_3) | instskip(NEXT) | instid1(VALU_DEP_3)
	v_fmac_f32_e32 v87, -0.5, v93
	v_add_f32_e32 v91, v91, v94
	v_mul_f32_e32 v147, 0xbf4f1bbd, v82
	v_add_f32_e32 v99, v83, v144
	v_fmac_f32_e32 v143, 0xbf4f1bbd, v80
	v_fmamk_f32 v93, v92, 0xbf737871, v87
	v_fmac_f32_e32 v87, 0x3f737871, v92
	s_delay_alu instid0(VALU_DEP_3) | instskip(NEXT) | instid1(VALU_DEP_3)
	v_dual_fmac_f32 v147, 0x3f167918, v80 :: v_dual_sub_f32 v82, v1, v143
	v_fmac_f32_e32 v93, 0x3f167918, v84
	s_delay_alu instid0(VALU_DEP_3) | instskip(NEXT) | instid1(VALU_DEP_2)
	v_dual_fmac_f32 v87, 0xbf167918, v84 :: v_dual_add_f32 v84, v1, v143
	v_fmac_f32_e32 v93, 0x3e9e377a, v91
	s_delay_alu instid0(VALU_DEP_2) | instskip(SKIP_1) | instid1(VALU_DEP_2)
	v_fmac_f32_e32 v87, 0x3e9e377a, v91
	v_dual_mul_f32 v91, 0xbf167918, v90 :: v_dual_mov_b32 v210, v26
	v_dual_mul_f32 v141, 0xbf737871, v93 :: v_dual_mul_f32 v142, 0xbf737871, v87
	v_mul_f32_e32 v146, 0xbe9e377a, v87
	v_mul_f32_e32 v145, 0x3e9e377a, v93
	s_delay_alu instid0(VALU_DEP_4) | instskip(NEXT) | instid1(VALU_DEP_4)
	v_fmac_f32_e32 v91, 0x3f4f1bbd, v85
	v_fmac_f32_e32 v141, 0x3e9e377a, v88
	;; [unrolled: 1-line block ×4, first 2 shown]
	v_sub_f32_e32 v86, v0, v7
	scratch_load_b32 v0, off, off offset:420 th:TH_LOAD_LU ; 4-byte Folded Reload
	s_wait_loadcnt 0x0
	ds_store_b128 v0, v[116:119]
	ds_store_b128 v0, v[112:115] offset:16
	ds_store_b128 v0, v[104:107] offset:32
	;; [unrolled: 1-line block ×4, first 2 shown]
	scratch_load_b32 v0, off, off offset:288 th:TH_LOAD_LU ; 4-byte Folded Reload
	v_dual_fmac_f32 v145, 0x3f737871, v88 :: v_dual_add_f32 v98, v3, v91
	v_add_f32_e32 v92, v6, v141
	v_add_f32_e32 v94, v5, v142
	v_add_f32_e32 v95, v81, v146
	s_delay_alu instid0(VALU_DEP_4)
	v_add_f32_e32 v93, v140, v145
	v_add_f32_e32 v85, v4, v147
	v_dual_sub_f32 v87, v2, v89 :: v_dual_sub_f32 v88, v3, v91
	v_dual_sub_f32 v90, v6, v141 :: v_dual_sub_f32 v89, v83, v144
	;; [unrolled: 1-line block ×3, first 2 shown]
	v_sub_f32_e32 v81, v81, v146
	v_sub_f32_e32 v83, v4, v147
	s_wait_loadcnt 0x0
	ds_store_b128 v0, v[96:99]
	ds_store_b128 v0, v[92:95] offset:16
	ds_store_b128 v0, v[84:87] offset:32
	;; [unrolled: 1-line block ×4, first 2 shown]
	global_wb scope:SCOPE_SE
	s_wait_dscnt 0x0
	s_barrier_signal -1
	s_barrier_wait -1
	global_inv scope:SCOPE_SE
	ds_load_2addr_b64 v[88:91], v24 offset1:96
	ds_load_2addr_b64 v[80:83], v188 offset0:128 offset1:224
	ds_load_2addr_b64 v[98:101], v237 offset0:64 offset1:160
	;; [unrolled: 1-line block ×4, first 2 shown]
	ds_load_2addr_b64 v[125:128], v244 offset1:96
	ds_load_2addr_b64 v[110:113], v15 offset0:64 offset1:160
	ds_load_2addr_b64 v[114:117], v26 offset1:96
	ds_load_2addr_b64 v[120:123], v8 offset0:64 offset1:160
	ds_load_2addr_b64 v[84:87], v9 offset0:64 offset1:160
	;; [unrolled: 1-line block ×4, first 2 shown]
	ds_load_2addr_b64 v[137:140], v14 offset1:96
	ds_load_2addr_b64 v[141:144], v10 offset0:64 offset1:160
	ds_load_2addr_b64 v[145:148], v235 offset0:128 offset1:224
	scratch_load_b64 v[1:2], off, off offset:512 th:TH_LOAD_LU ; 8-byte Folded Reload
	v_dual_mov_b32 v150, v8 :: v_dual_mov_b32 v151, v10
	s_wait_dscnt 0xd
	v_mul_f32_e32 v27, v190, v83
	v_mul_f32_e32 v0, v190, v82
	s_wait_dscnt 0xc
	v_dual_mul_f32 v96, v192, v99 :: v_dual_mul_f32 v15, v31, v101
	s_wait_dscnt 0x8
	v_mul_f32_e32 v12, v29, v111
	v_fmac_f32_e32 v27, v189, v82
	v_fma_f32 v82, v189, v83, -v0
	v_mul_f32_e32 v0, v192, v98
	v_fmac_f32_e32 v96, v191, v98
	v_dual_fmac_f32 v12, v28, v110 :: v_dual_mul_f32 v11, v21, v113
	v_fmac_f32_e32 v15, v30, v100
	s_delay_alu instid0(VALU_DEP_4)
	v_fma_f32 v98, v191, v99, -v0
	v_mul_f32_e32 v0, v194, v104
	v_mul_f32_e32 v83, v194, v105
	v_fmac_f32_e32 v11, v20, v112
	v_mul_f32_e32 v97, v196, v107
	v_mul_f32_e32 v9, v163, v109
	v_fma_f32 v93, v193, v105, -v0
	v_dual_mul_f32 v0, v196, v106 :: v_dual_fmac_f32 v83, v193, v104
	s_wait_dscnt 0x7
	v_dual_fmac_f32 v97, v195, v106 :: v_dual_mul_f32 v14, v161, v115
	v_mul_f32_e32 v118, v55, v126
	s_delay_alu instid0(VALU_DEP_3) | instskip(NEXT) | instid1(VALU_DEP_3)
	v_fma_f32 v99, v195, v107, -v0
	v_dual_fmac_f32 v9, v162, v108 :: v_dual_sub_f32 v6, v96, v97
	s_delay_alu instid0(VALU_DEP_4) | instskip(NEXT) | instid1(VALU_DEP_4)
	v_fmac_f32_e32 v14, v160, v114
	v_fmac_f32_e32 v118, v54, v125
	s_delay_alu instid0(VALU_DEP_4) | instskip(SKIP_1) | instid1(VALU_DEP_2)
	v_add_f32_e32 v5, v98, v99
	v_sub_f32_e32 v3, v98, v99
	v_fma_f32 v5, -0.5, v5, v89
	s_delay_alu instid0(VALU_DEP_1) | instskip(SKIP_4) | instid1(VALU_DEP_2)
	v_fmamk_f32 v7, v6, 0x3f5db3d7, v5
	v_dual_fmac_f32 v5, 0xbf5db3d7, v6 :: v_dual_add_f32 v6, v27, v83
	s_wait_loadcnt 0x0
	v_mul_f32_e32 v92, v2, v128
	v_mul_f32_e32 v0, v2, v127
	v_fmac_f32_e32 v92, v1, v127
	s_delay_alu instid0(VALU_DEP_2)
	v_fma_f32 v94, v1, v128, -v0
	scratch_load_b64 v[1:2], off, off offset:304 th:TH_LOAD_LU ; 8-byte Folded Reload
	v_mul_f32_e32 v0, v29, v110
	s_wait_dscnt 0x4
	v_mul_f32_e32 v29, v23, v130
	v_add_f32_e32 v25, v83, v92
	v_add_f32_e32 v6, v6, v92
	s_wait_dscnt 0x1
	v_mul_f32_e32 v110, v53, v144
	v_fma_f32 v13, v28, v111, -v0
	v_dual_mul_f32 v0, v31, v100 :: v_dual_fmac_f32 v29, v22, v129
	v_fmac_f32_e32 v27, -0.5, v25
	v_sub_f32_e32 v25, v93, v94
	v_mul_f32_e32 v31, v43, v132
	s_delay_alu instid0(VALU_DEP_4)
	v_fma_f32 v28, v30, v101, -v0
	v_mul_f32_e32 v0, v161, v114
	v_mul_f32_e32 v30, v19, v134
	v_fmamk_f32 v26, v25, 0xbf5db3d7, v27
	v_fmac_f32_e32 v27, 0x3f5db3d7, v25
	v_add_f32_e32 v25, v82, v93
	v_fma_f32 v8, v160, v115, -v0
	v_mul_f32_e32 v0, v163, v108
	v_fmac_f32_e32 v30, v18, v133
	s_delay_alu instid0(VALU_DEP_4) | instskip(SKIP_1) | instid1(VALU_DEP_4)
	v_dual_mul_f32 v114, v35, v136 :: v_dual_add_f32 v25, v25, v94
	v_mul_f32_e32 v115, v71, v103
	v_fma_f32 v10, v162, v109, -v0
	v_mul_f32_e32 v108, v69, v140
	s_delay_alu instid0(VALU_DEP_4)
	v_fmac_f32_e32 v114, v34, v135
	v_fmac_f32_e32 v31, v42, v131
	v_dual_fmac_f32 v115, v70, v102 :: v_dual_fmac_f32 v110, v52, v143
	s_wait_loadcnt 0x0
	v_dual_fmac_f32 v108, v68, v139 :: v_dual_mul_f32 v95, v2, v121
	v_mul_f32_e32 v0, v2, v120
	s_delay_alu instid0(VALU_DEP_2) | instskip(NEXT) | instid1(VALU_DEP_2)
	v_fmac_f32_e32 v95, v1, v120
	v_fma_f32 v119, v1, v121, -v0
	scratch_load_b64 v[1:2], off, off offset:316 th:TH_LOAD_LU ; 8-byte Folded Reload
	v_mul_f32_e32 v0, v21, v112
	v_mul_f32_e32 v21, v17, v117
	s_delay_alu instid0(VALU_DEP_2) | instskip(NEXT) | instid1(VALU_DEP_2)
	v_fma_f32 v20, v20, v113, -v0
	v_dual_mul_f32 v0, v23, v129 :: v_dual_fmac_f32 v21, v16, v116
	s_delay_alu instid0(VALU_DEP_1) | instskip(SKIP_1) | instid1(VALU_DEP_1)
	v_fma_f32 v23, v22, v130, -v0
	v_mul_f32_e32 v0, v17, v116
	v_fma_f32 v22, v16, v117, -v0
	v_mul_f32_e32 v0, v19, v133
	v_mul_f32_e32 v16, v41, v138
	s_delay_alu instid0(VALU_DEP_2) | instskip(SKIP_1) | instid1(VALU_DEP_3)
	v_fma_f32 v111, v18, v134, -v0
	v_mul_f32_e32 v18, v33, v142
	v_fmac_f32_e32 v16, v40, v137
	s_wait_loadcnt 0x0
	s_delay_alu instid0(VALU_DEP_2) | instskip(SKIP_1) | instid1(VALU_DEP_2)
	v_dual_fmac_f32 v18, v32, v141 :: v_dual_mul_f32 v121, v2, v123
	v_mul_f32_e32 v0, v2, v122
	v_fmac_f32_e32 v121, v1, v122
	s_delay_alu instid0(VALU_DEP_2) | instskip(SKIP_2) | instid1(VALU_DEP_1)
	v_fma_f32 v122, v1, v123, -v0
	scratch_load_b64 v[1:2], off, off offset:336 th:TH_LOAD_LU ; 8-byte Folded Reload
	v_mul_f32_e32 v0, v41, v137
	v_fma_f32 v17, v40, v138, -v0
	v_mul_f32_e32 v0, v43, v131
	s_delay_alu instid0(VALU_DEP_1) | instskip(SKIP_1) | instid1(VALU_DEP_1)
	v_fma_f32 v112, v42, v132, -v0
	v_mul_f32_e32 v0, v33, v141
	v_fma_f32 v19, v32, v142, -v0
	v_mul_f32_e32 v0, v35, v135
	v_add_f32_e32 v32, v93, v94
	s_delay_alu instid0(VALU_DEP_2) | instskip(NEXT) | instid1(VALU_DEP_2)
	v_fma_f32 v116, v34, v136, -v0
	v_fmac_f32_e32 v82, -0.5, v32
	v_sub_f32_e32 v32, v83, v92
	s_delay_alu instid0(VALU_DEP_1) | instskip(SKIP_1) | instid1(VALU_DEP_2)
	v_fmamk_f32 v33, v32, 0x3f5db3d7, v82
	v_fmac_f32_e32 v82, 0xbf5db3d7, v32
	v_mul_f32_e32 v32, 0xbf5db3d7, v33
	s_delay_alu instid0(VALU_DEP_2) | instskip(NEXT) | instid1(VALU_DEP_2)
	v_dual_mul_f32 v34, 0xbf5db3d7, v82 :: v_dual_mul_f32 v33, 0.5, v33
	v_fmac_f32_e32 v32, 0.5, v26
	s_delay_alu instid0(VALU_DEP_2) | instskip(NEXT) | instid1(VALU_DEP_1)
	v_dual_fmac_f32 v34, -0.5, v27 :: v_dual_fmac_f32 v33, 0x3f5db3d7, v26
	v_dual_mul_f32 v26, -0.5, v82 :: v_dual_add_f32 v101, v7, v33
	s_delay_alu instid0(VALU_DEP_1) | instskip(NEXT) | instid1(VALU_DEP_1)
	v_fmac_f32_e32 v26, 0x3f5db3d7, v27
	v_sub_f32_e32 v105, v5, v26
	s_wait_loadcnt_dscnt 0x0
	v_mul_f32_e32 v123, v2, v146
	v_mul_f32_e32 v0, v2, v145
	s_delay_alu instid0(VALU_DEP_2) | instskip(NEXT) | instid1(VALU_DEP_2)
	v_fmac_f32_e32 v123, v1, v145
	v_fma_f32 v124, v1, v146, -v0
	scratch_load_b64 v[1:2], off, off offset:520 th:TH_LOAD_LU ; 8-byte Folded Reload
	v_mul_f32_e32 v0, v69, v139
	global_wb scope:SCOPE_SE
	s_wait_loadcnt 0x0
	s_barrier_signal -1
	s_barrier_wait -1
	global_inv scope:SCOPE_SE
	v_fma_f32 v109, v68, v140, -v0
	v_mul_f32_e32 v0, v71, v102
	s_delay_alu instid0(VALU_DEP_1) | instskip(SKIP_2) | instid1(VALU_DEP_2)
	v_fma_f32 v117, v70, v103, -v0
	v_dual_mul_f32 v0, v53, v143 :: v_dual_sub_f32 v103, v7, v33
	v_add_f32_e32 v7, v14, v95
	v_fma_f32 v113, v52, v144, -v0
	v_mul_f32_e32 v0, v55, v125
	s_delay_alu instid0(VALU_DEP_1) | instskip(SKIP_2) | instid1(VALU_DEP_2)
	v_fma_f32 v120, v54, v126, -v0
	v_mul_f32_e32 v125, v2, v148
	v_mul_f32_e32 v0, v2, v147
	v_dual_add_f32 v2, v96, v97 :: v_dual_fmac_f32 v125, v1, v147
	s_delay_alu instid0(VALU_DEP_2) | instskip(NEXT) | instid1(VALU_DEP_2)
	v_fma_f32 v0, v1, v148, -v0
	v_fma_f32 v2, -0.5, v2, v88
	s_delay_alu instid0(VALU_DEP_1) | instskip(SKIP_1) | instid1(VALU_DEP_2)
	v_dual_add_f32 v1, v88, v96 :: v_dual_fmamk_f32 v4, v3, 0xbf5db3d7, v2
	v_dual_fmac_f32 v2, 0x3f5db3d7, v3 :: v_dual_add_f32 v3, v89, v98
	v_add_f32_e32 v1, v1, v97
	v_add_f32_e32 v97, v5, v26
	;; [unrolled: 1-line block ×3, first 2 shown]
	s_delay_alu instid0(VALU_DEP_4) | instskip(SKIP_3) | instid1(VALU_DEP_4)
	v_dual_add_f32 v96, v2, v34 :: v_dual_add_f32 v3, v3, v99
	v_sub_f32_e32 v104, v2, v34
	v_add_f32_e32 v2, v15, v9
	v_add_f32_e32 v100, v4, v32
	v_dual_sub_f32 v102, v4, v32 :: v_dual_add_f32 v99, v3, v25
	v_sub_f32_e32 v107, v3, v25
	s_delay_alu instid0(VALU_DEP_4) | instskip(SKIP_3) | instid1(VALU_DEP_3)
	v_fma_f32 v2, -0.5, v2, v90
	v_sub_f32_e32 v3, v28, v10
	v_add_f32_e32 v98, v1, v6
	v_dual_sub_f32 v106, v1, v6 :: v_dual_add_f32 v1, v90, v15
	v_fmamk_f32 v4, v3, 0xbf5db3d7, v2
	v_dual_fmac_f32 v2, 0x3f5db3d7, v3 :: v_dual_add_f32 v3, v91, v28
	v_fmac_f32_e32 v91, -0.5, v5
	v_sub_f32_e32 v5, v15, v9
	v_add_f32_e32 v1, v1, v9
	s_delay_alu instid0(VALU_DEP_2) | instskip(SKIP_3) | instid1(VALU_DEP_2)
	v_dual_add_f32 v3, v3, v10 :: v_dual_fmamk_f32 v6, v5, 0x3f5db3d7, v91
	v_fmac_f32_e32 v91, 0xbf5db3d7, v5
	v_dual_add_f32 v5, v12, v14 :: v_dual_fmac_f32 v12, -0.5, v7
	v_sub_f32_e32 v7, v8, v119
	v_add_f32_e32 v5, v5, v95
	s_delay_alu instid0(VALU_DEP_2) | instskip(SKIP_2) | instid1(VALU_DEP_4)
	v_fmamk_f32 v9, v7, 0xbf5db3d7, v12
	v_dual_fmac_f32 v12, 0x3f5db3d7, v7 :: v_dual_add_f32 v7, v13, v8
	v_add_f32_e32 v8, v8, v119
	v_add_f32_e32 v92, v1, v5
	v_dual_sub_f32 v88, v1, v5 :: v_dual_add_f32 v5, v23, v111
	s_delay_alu instid0(VALU_DEP_4) | instskip(NEXT) | instid1(VALU_DEP_4)
	v_add_f32_e32 v7, v7, v119
	v_dual_fmac_f32 v13, -0.5, v8 :: v_dual_sub_f32 v8, v14, v95
	v_add_f32_e32 v1, v84, v29
	s_delay_alu instid0(VALU_DEP_4) | instskip(NEXT) | instid1(VALU_DEP_4)
	v_fma_f32 v5, -0.5, v5, v85
	v_add_f32_e32 v93, v3, v7
	s_delay_alu instid0(VALU_DEP_4) | instskip(SKIP_3) | instid1(VALU_DEP_4)
	v_dual_sub_f32 v89, v3, v7 :: v_dual_fmamk_f32 v10, v8, 0x3f5db3d7, v13
	v_fmac_f32_e32 v13, 0xbf5db3d7, v8
	v_sub_f32_e32 v3, v23, v111
	v_add_f32_e32 v1, v1, v30
	v_mul_f32_e32 v8, 0xbf5db3d7, v10
	v_mul_f32_e32 v10, 0.5, v10
	v_mul_f32_e32 v14, 0xbf5db3d7, v13
	s_delay_alu instid0(VALU_DEP_3) | instskip(NEXT) | instid1(VALU_DEP_3)
	v_fmac_f32_e32 v8, 0.5, v9
	v_fmac_f32_e32 v10, 0x3f5db3d7, v9
	s_delay_alu instid0(VALU_DEP_3) | instskip(NEXT) | instid1(VALU_DEP_2)
	v_dual_mul_f32 v9, -0.5, v13 :: v_dual_fmac_f32 v14, -0.5, v12
	v_dual_add_f32 v94, v4, v8 :: v_dual_add_f32 v95, v6, v10
	v_dual_sub_f32 v68, v4, v8 :: v_dual_sub_f32 v69, v6, v10
	v_sub_f32_e32 v6, v29, v30
	s_delay_alu instid0(VALU_DEP_4) | instskip(SKIP_2) | instid1(VALU_DEP_4)
	v_dual_add_f32 v8, v21, v121 :: v_dual_fmac_f32 v9, 0x3f5db3d7, v12
	v_add_f32_e32 v10, v22, v122
	v_add_f32_e32 v82, v2, v14
	v_fmamk_f32 v7, v6, 0x3f5db3d7, v5
	v_dual_fmac_f32 v5, 0xbf5db3d7, v6 :: v_dual_add_f32 v6, v11, v21
	v_dual_fmac_f32 v11, -0.5, v8 :: v_dual_sub_f32 v8, v22, v122
	v_add_f32_e32 v83, v91, v9
	v_dual_sub_f32 v71, v91, v9 :: v_dual_sub_f32 v70, v2, v14
	s_delay_alu instid0(VALU_DEP_3) | instskip(SKIP_3) | instid1(VALU_DEP_4)
	v_dual_add_f32 v2, v29, v30 :: v_dual_fmamk_f32 v9, v8, 0xbf5db3d7, v11
	v_dual_fmac_f32 v11, 0x3f5db3d7, v8 :: v_dual_add_f32 v8, v20, v22
	v_fmac_f32_e32 v20, -0.5, v10
	v_sub_f32_e32 v10, v21, v121
	v_fma_f32 v2, -0.5, v2, v84
	v_add_f32_e32 v6, v6, v121
	v_add_f32_e32 v8, v8, v122
	s_delay_alu instid0(VALU_DEP_4) | instskip(SKIP_3) | instid1(VALU_DEP_4)
	v_fmamk_f32 v12, v10, 0x3f5db3d7, v20
	v_fmac_f32_e32 v20, 0xbf5db3d7, v10
	v_fmamk_f32 v4, v3, 0xbf5db3d7, v2
	v_fmac_f32_e32 v2, 0x3f5db3d7, v3
	v_dual_add_f32 v3, v85, v23 :: v_dual_mul_f32 v10, 0xbf5db3d7, v12
	s_delay_alu instid0(VALU_DEP_4) | instskip(SKIP_1) | instid1(VALU_DEP_3)
	v_mul_f32_e32 v13, 0xbf5db3d7, v20
	v_mul_f32_e32 v12, 0.5, v12
	v_dual_add_f32 v52, v1, v6 :: v_dual_add_f32 v3, v3, v111
	s_delay_alu instid0(VALU_DEP_3) | instskip(NEXT) | instid1(VALU_DEP_3)
	v_dual_fmac_f32 v10, 0.5, v9 :: v_dual_fmac_f32 v13, -0.5, v11
	v_dual_fmac_f32 v12, 0x3f5db3d7, v9 :: v_dual_mul_f32 v9, -0.5, v20
	s_delay_alu instid0(VALU_DEP_3) | instskip(NEXT) | instid1(VALU_DEP_3)
	v_add_f32_e32 v53, v3, v8
	v_dual_sub_f32 v43, v3, v8 :: v_dual_add_f32 v40, v2, v13
	s_delay_alu instid0(VALU_DEP_3) | instskip(SKIP_2) | instid1(VALU_DEP_3)
	v_dual_sub_f32 v34, v2, v13 :: v_dual_fmac_f32 v9, 0x3f5db3d7, v11
	v_dual_add_f32 v2, v31, v114 :: v_dual_sub_f32 v3, v112, v116
	v_dual_add_f32 v54, v4, v10 :: v_dual_add_f32 v55, v7, v12
	v_add_f32_e32 v41, v5, v9
	v_sub_f32_e32 v35, v5, v9
	s_delay_alu instid0(VALU_DEP_4) | instskip(SKIP_2) | instid1(VALU_DEP_3)
	v_fma_f32 v2, -0.5, v2, v86
	v_add_f32_e32 v5, v112, v116
	v_dual_sub_f32 v32, v4, v10 :: v_dual_sub_f32 v33, v7, v12
	v_dual_add_f32 v7, v18, v123 :: v_dual_fmamk_f32 v4, v3, 0xbf5db3d7, v2
	v_dual_fmac_f32 v2, 0x3f5db3d7, v3 :: v_dual_add_f32 v3, v87, v112
	s_delay_alu instid0(VALU_DEP_4) | instskip(SKIP_3) | instid1(VALU_DEP_3)
	v_fmac_f32_e32 v87, -0.5, v5
	v_sub_f32_e32 v5, v31, v114
	v_dual_sub_f32 v42, v1, v6 :: v_dual_add_f32 v9, v19, v124
	v_add_f32_e32 v1, v86, v31
	v_dual_add_f32 v3, v3, v116 :: v_dual_fmamk_f32 v6, v5, 0x3f5db3d7, v87
	v_fmac_f32_e32 v87, 0xbf5db3d7, v5
	v_dual_add_f32 v5, v16, v18 :: v_dual_fmac_f32 v16, -0.5, v7
	v_sub_f32_e32 v7, v19, v124
	v_add_f32_e32 v1, v1, v114
	s_delay_alu instid0(VALU_DEP_2) | instskip(SKIP_3) | instid1(VALU_DEP_4)
	v_dual_add_f32 v5, v5, v123 :: v_dual_fmamk_f32 v8, v7, 0xbf5db3d7, v16
	v_fmac_f32_e32 v16, 0x3f5db3d7, v7
	v_add_f32_e32 v7, v17, v19
	v_fmac_f32_e32 v17, -0.5, v9
	v_dual_sub_f32 v9, v18, v123 :: v_dual_add_f32 v28, v1, v5
	s_delay_alu instid0(VALU_DEP_3) | instskip(SKIP_1) | instid1(VALU_DEP_3)
	v_dual_sub_f32 v26, v1, v5 :: v_dual_add_f32 v7, v7, v124
	v_add_f32_e32 v5, v117, v120
	v_fmamk_f32 v10, v9, 0x3f5db3d7, v17
	v_fmac_f32_e32 v17, 0xbf5db3d7, v9
	v_add_f32_e32 v1, v80, v115
	v_add_f32_e32 v29, v3, v7
	v_sub_f32_e32 v27, v3, v7
	v_mul_f32_e32 v9, 0xbf5db3d7, v10
	v_dual_mul_f32 v11, 0xbf5db3d7, v17 :: v_dual_mul_f32 v10, 0.5, v10
	v_sub_f32_e32 v3, v117, v120
	v_add_f32_e32 v7, v110, v125
	s_delay_alu instid0(VALU_DEP_4) | instskip(NEXT) | instid1(VALU_DEP_4)
	v_fmac_f32_e32 v9, 0.5, v8
	v_fmac_f32_e32 v11, -0.5, v16
	v_fmac_f32_e32 v10, 0x3f5db3d7, v8
	v_dual_mul_f32 v8, -0.5, v17 :: v_dual_add_f32 v1, v1, v118
	s_delay_alu instid0(VALU_DEP_4) | instskip(NEXT) | instid1(VALU_DEP_4)
	v_add_f32_e32 v30, v4, v9
	v_add_f32_e32 v84, v2, v11
	v_sub_f32_e32 v22, v2, v11
	v_add_f32_e32 v2, v115, v118
	v_dual_sub_f32 v20, v4, v9 :: v_dual_add_f32 v31, v6, v10
	v_dual_fmac_f32 v8, 0x3f5db3d7, v16 :: v_dual_sub_f32 v21, v6, v10
	s_delay_alu instid0(VALU_DEP_3) | instskip(NEXT) | instid1(VALU_DEP_2)
	v_fma_f32 v2, -0.5, v2, v80
	v_add_f32_e32 v85, v87, v8
	v_sub_f32_e32 v23, v87, v8
	s_delay_alu instid0(VALU_DEP_3) | instskip(SKIP_3) | instid1(VALU_DEP_1)
	v_fmamk_f32 v4, v3, 0xbf5db3d7, v2
	v_dual_fmac_f32 v2, 0x3f5db3d7, v3 :: v_dual_add_f32 v3, v81, v117
	v_fmac_f32_e32 v81, -0.5, v5
	v_sub_f32_e32 v5, v115, v118
	v_dual_add_f32 v3, v3, v120 :: v_dual_fmamk_f32 v6, v5, 0x3f5db3d7, v81
	v_fmac_f32_e32 v81, 0xbf5db3d7, v5
	v_dual_add_f32 v5, v108, v110 :: v_dual_fmac_f32 v108, -0.5, v7
	v_sub_f32_e32 v7, v113, v0
	s_delay_alu instid0(VALU_DEP_1) | instskip(SKIP_1) | instid1(VALU_DEP_2)
	v_dual_add_f32 v5, v5, v125 :: v_dual_fmamk_f32 v8, v7, 0xbf5db3d7, v108
	v_dual_fmac_f32 v108, 0x3f5db3d7, v7 :: v_dual_add_f32 v7, v109, v113
	v_add_f32_e32 v16, v1, v5
	s_delay_alu instid0(VALU_DEP_2) | instskip(NEXT) | instid1(VALU_DEP_1)
	v_dual_sub_f32 v14, v1, v5 :: v_dual_add_f32 v7, v7, v0
	v_dual_add_f32 v0, v113, v0 :: v_dual_add_f32 v17, v3, v7
	s_delay_alu instid0(VALU_DEP_1) | instskip(SKIP_1) | instid1(VALU_DEP_2)
	v_dual_fmac_f32 v109, -0.5, v0 :: v_dual_sub_f32 v0, v110, v125
	v_sub_f32_e32 v15, v3, v7
	v_fmamk_f32 v9, v0, 0x3f5db3d7, v109
	s_delay_alu instid0(VALU_DEP_1) | instskip(SKIP_1) | instid1(VALU_DEP_2)
	v_dual_fmac_f32 v109, 0xbf5db3d7, v0 :: v_dual_mul_f32 v0, 0xbf5db3d7, v9
	v_mul_f32_e32 v9, 0.5, v9
	v_mul_f32_e32 v10, 0xbf5db3d7, v109
	s_delay_alu instid0(VALU_DEP_3) | instskip(NEXT) | instid1(VALU_DEP_3)
	v_dual_mul_f32 v11, -0.5, v109 :: v_dual_fmac_f32 v0, 0.5, v8
	v_fmac_f32_e32 v9, 0x3f5db3d7, v8
	s_delay_alu instid0(VALU_DEP_3) | instskip(NEXT) | instid1(VALU_DEP_3)
	v_fmac_f32_e32 v10, -0.5, v108
	v_fmac_f32_e32 v11, 0x3f5db3d7, v108
	s_delay_alu instid0(VALU_DEP_4)
	v_add_f32_e32 v18, v4, v0
	v_sub_f32_e32 v8, v4, v0
	scratch_load_b32 v0, off, off offset:400 th:TH_LOAD_LU ; 4-byte Folded Reload
	s_wait_loadcnt 0x0
	ds_store_2addr_b64 v0, v[98:99], v[100:101] offset1:10
	ds_store_2addr_b64 v0, v[96:97], v[106:107] offset0:20 offset1:30
	ds_store_2addr_b64 v0, v[102:103], v[104:105] offset0:40 offset1:50
	scratch_load_b32 v0, off, off offset:368 th:TH_LOAD_LU ; 4-byte Folded Reload
	s_wait_loadcnt 0x0
	ds_store_2addr_b64 v0, v[92:93], v[94:95] offset1:10
	ds_store_2addr_b64 v0, v[82:83], v[88:89] offset0:20 offset1:30
	ds_store_2addr_b64 v0, v[68:69], v[70:71] offset0:40 offset1:50
	;; [unrolled: 5-line block ×4, first 2 shown]
	scratch_load_b32 v0, off, off offset:312 th:TH_LOAD_LU ; 4-byte Folded Reload
	v_add_f32_e32 v19, v6, v9
	v_dual_add_f32 v12, v2, v10 :: v_dual_add_f32 v13, v81, v11
	v_sub_f32_e32 v10, v2, v10
	v_sub_f32_e32 v9, v6, v9
	;; [unrolled: 1-line block ×3, first 2 shown]
	s_wait_loadcnt 0x0
	ds_store_2addr_b64 v0, v[16:17], v[18:19] offset1:10
	ds_store_2addr_b64 v0, v[12:13], v[14:15] offset0:20 offset1:30
	ds_store_2addr_b64 v0, v[8:9], v[10:11] offset0:40 offset1:50
	global_wb scope:SCOPE_SE
	s_wait_dscnt 0x0
	s_barrier_signal -1
	s_barrier_wait -1
	global_inv scope:SCOPE_SE
	ds_load_2addr_b64 v[16:19], v24 offset1:96
	ds_load_2addr_b64 v[8:11], v188 offset0:128 offset1:224
	ds_load_2addr_b64 v[29:32], v237 offset0:64 offset1:160
	;; [unrolled: 1-line block ×4, first 2 shown]
	ds_load_2addr_b64 v[83:86], v244 offset1:96
	ds_load_2addr_b64 v[87:90], v149 offset0:64 offset1:160
	ds_load_2addr_b64 v[91:94], v210 offset1:96
	ds_load_2addr_b64 v[95:98], v150 offset0:64 offset1:160
	ds_load_2addr_b64 v[12:15], v233 offset0:64 offset1:160
	;; [unrolled: 1-line block ×4, first 2 shown]
	ds_load_2addr_b64 v[107:110], v236 offset1:96
	ds_load_2addr_b64 v[111:114], v151 offset0:64 offset1:160
	ds_load_2addr_b64 v[115:118], v235 offset0:128 offset1:224
	scratch_load_b64 v[1:2], off, off offset:292 th:TH_LOAD_LU ; 8-byte Folded Reload
	s_wait_dscnt 0xd
	v_mul_f32_e32 v0, v203, v10
	s_wait_dscnt 0xc
	v_mul_f32_e32 v5, v63, v32
	s_wait_dscnt 0xa
	v_dual_mul_f32 v20, v203, v11 :: v_dual_mul_f32 v41, v209, v69
	v_mul_f32_e32 v35, v205, v30
	v_fma_f32 v4, v202, v11, -v0
	v_dual_mul_f32 v0, v205, v29 :: v_dual_fmac_f32 v5, v62, v31
	s_wait_dscnt 0x7
	v_mul_f32_e32 v25, v37, v93
	s_wait_dscnt 0x4
	v_mul_f32_e32 v23, v47, v99
	v_mul_f32_e32 v21, v45, v89
	v_fma_f32 v42, v204, v30, -v0
	v_mul_f32_e32 v0, v207, v54
	v_fma_f32 v27, v36, v94, -v25
	s_wait_dscnt 0x3
	v_mul_f32_e32 v25, v39, v103
	v_fma_f32 v21, v44, v90, -v21
	v_fmac_f32_e32 v41, v208, v68
	v_fma_f32 v28, v206, v55, -v0
	v_mul_f32_e32 v0, v209, v68
	v_fma_f32 v33, v38, v104, -v25
	v_mul_f32_e32 v68, v67, v102
	v_dual_mul_f32 v7, v51, v71 :: v_dual_fmac_f32 v20, v202, v10
	s_delay_alu instid0(VALU_DEP_4) | instskip(SKIP_1) | instid1(VALU_DEP_4)
	v_fma_f32 v43, v208, v69, -v0
	v_fmac_f32_e32 v35, v204, v29
	v_fmac_f32_e32 v68, v66, v101
	s_delay_alu instid0(VALU_DEP_4) | instskip(SKIP_4) | instid1(VALU_DEP_4)
	v_fmac_f32_e32 v7, v50, v70
	v_mul_f32_e32 v10, v51, v70
	v_mul_f32_e32 v22, v207, v55
	;; [unrolled: 1-line block ×4, first 2 shown]
	v_fma_f32 v10, v50, v71, -v10
	s_delay_alu instid0(VALU_DEP_4) | instskip(NEXT) | instid1(VALU_DEP_4)
	v_fmac_f32_e32 v22, v206, v54
	v_fma_f32 v3, v48, v92, -v3
	v_mul_f32_e32 v71, v59, v106
	v_fmac_f32_e32 v29, v46, v99
	s_delay_alu instid0(VALU_DEP_2) | instskip(SKIP_4) | instid1(VALU_DEP_3)
	v_fmac_f32_e32 v71, v58, v105
	s_wait_loadcnt 0x0
	v_mul_f32_e32 v26, v2, v86
	v_mul_f32_e32 v0, v2, v85
	;; [unrolled: 1-line block ×3, first 2 shown]
	v_fmac_f32_e32 v26, v1, v85
	s_delay_alu instid0(VALU_DEP_3) | instskip(NEXT) | instid1(VALU_DEP_3)
	v_fma_f32 v30, v1, v86, -v0
	v_fma_f32 v6, v62, v32, -v2
	scratch_load_b64 v[31:32], off, off offset:324 th:TH_LOAD_LU ; 8-byte Folded Reload
	v_mul_f32_e32 v2, v49, v92
	v_mul_f32_e32 v0, v61, v88
	;; [unrolled: 1-line block ×3, first 2 shown]
	s_wait_dscnt 0x1
	v_mul_f32_e32 v62, v57, v112
	v_fmac_f32_e32 v2, v48, v91
	v_fmac_f32_e32 v0, v60, v87
	v_fma_f32 v1, v60, v88, -v1
	s_delay_alu instid0(VALU_DEP_4) | instskip(SKIP_4) | instid1(VALU_DEP_3)
	v_fmac_f32_e32 v62, v56, v111
	s_wait_loadcnt 0x0
	v_mul_f32_e32 v34, v32, v96
	v_dual_mul_f32 v11, v32, v95 :: v_dual_mul_f32 v32, v39, v104
	v_add_f32_e32 v39, v35, v41
	v_fmac_f32_e32 v34, v31, v95
	s_delay_alu instid0(VALU_DEP_3)
	v_fma_f32 v40, v31, v96, -v11
	v_fma_f32 v31, v46, v100, -v23
	v_dual_mul_f32 v23, v37, v94 :: v_dual_fmac_f32 v32, v38, v103
	scratch_load_b64 v[37:38], off, off offset:348 th:TH_LOAD_LU ; 8-byte Folded Reload
	v_mul_f32_e32 v11, v45, v90
	v_fmac_f32_e32 v23, v36, v93
	s_delay_alu instid0(VALU_DEP_2) | instskip(SKIP_4) | instid1(VALU_DEP_2)
	v_fmac_f32_e32 v11, v44, v89
	scratch_load_b64 v[44:45], off, off offset:360 th:TH_LOAD_LU ; 8-byte Folded Reload
	s_wait_loadcnt 0x1
	v_mul_f32_e32 v36, v38, v98
	v_dual_mul_f32 v25, v38, v97 :: v_dual_mul_f32 v38, v65, v107
	v_fmac_f32_e32 v36, v37, v97
	s_delay_alu instid0(VALU_DEP_2) | instskip(SKIP_4) | instid1(VALU_DEP_3)
	v_fma_f32 v37, v37, v98, -v25
	v_mul_f32_e32 v25, v65, v108
	s_wait_loadcnt_dscnt 0x0
	v_mul_f32_e32 v81, v45, v116
	v_mul_f32_e32 v65, v77, v110
	v_fmac_f32_e32 v25, v64, v107
	v_fma_f32 v64, v64, v108, -v38
	s_delay_alu instid0(VALU_DEP_4) | instskip(SKIP_2) | instid1(VALU_DEP_3)
	v_dual_mul_f32 v38, v67, v101 :: v_dual_fmac_f32 v81, v44, v115
	v_mul_f32_e32 v67, v73, v114
	v_fmac_f32_e32 v65, v76, v109
	v_fma_f32 v69, v66, v102, -v38
	s_delay_alu instid0(VALU_DEP_3) | instskip(NEXT) | instid1(VALU_DEP_1)
	v_dual_mul_f32 v38, v57, v111 :: v_dual_fmac_f32 v67, v72, v113
	v_fma_f32 v63, v56, v112, -v38
	v_mul_f32_e32 v38, v59, v105
	s_delay_alu instid0(VALU_DEP_1) | instskip(SKIP_1) | instid1(VALU_DEP_1)
	v_fma_f32 v80, v58, v106, -v38
	v_mul_f32_e32 v38, v45, v115
	v_fma_f32 v82, v44, v116, -v38
	scratch_load_b64 v[44:45], off, off offset:468 th:TH_LOAD_LU ; 8-byte Folded Reload
	v_mul_f32_e32 v38, v77, v109
	global_wb scope:SCOPE_SE
	s_wait_loadcnt 0x0
	s_barrier_signal -1
	s_barrier_wait -1
	global_inv scope:SCOPE_SE
	v_fma_f32 v66, v76, v110, -v38
	v_mul_f32_e32 v38, v79, v52
	v_mul_f32_e32 v76, v79, v53
	s_delay_alu instid0(VALU_DEP_2) | instskip(SKIP_1) | instid1(VALU_DEP_3)
	v_fma_f32 v77, v78, v53, -v38
	v_mul_f32_e32 v38, v73, v113
	v_fmac_f32_e32 v76, v78, v52
	s_delay_alu instid0(VALU_DEP_2) | instskip(SKIP_2) | instid1(VALU_DEP_2)
	v_fma_f32 v70, v72, v114, -v38
	v_mul_f32_e32 v38, v75, v83
	v_mul_f32_e32 v72, v75, v84
	v_fma_f32 v73, v74, v84, -v38
	s_delay_alu instid0(VALU_DEP_2) | instskip(SKIP_2) | instid1(VALU_DEP_2)
	v_fmac_f32_e32 v72, v74, v83
	v_mul_f32_e32 v38, v45, v117
	v_mul_f32_e32 v74, v45, v118
	v_fma_f32 v75, v44, v118, -v38
	v_add_f32_e32 v38, v16, v35
	v_fma_f32 v16, -0.5, v39, v16
	s_delay_alu instid0(VALU_DEP_4) | instskip(SKIP_1) | instid1(VALU_DEP_4)
	v_dual_sub_f32 v39, v42, v43 :: v_dual_fmac_f32 v74, v44, v117
	v_sub_f32_e32 v35, v35, v41
	v_add_f32_e32 v38, v38, v41
	s_delay_alu instid0(VALU_DEP_3) | instskip(SKIP_2) | instid1(VALU_DEP_2)
	v_fmamk_f32 v44, v39, 0xbf5db3d7, v16
	v_dual_fmac_f32 v16, 0x3f5db3d7, v39 :: v_dual_add_f32 v39, v17, v42
	v_add_f32_e32 v42, v42, v43
	v_add_f32_e32 v39, v39, v43
	s_delay_alu instid0(VALU_DEP_2) | instskip(NEXT) | instid1(VALU_DEP_1)
	v_fma_f32 v17, -0.5, v42, v17
	v_dual_add_f32 v42, v22, v26 :: v_dual_fmamk_f32 v41, v35, 0x3f5db3d7, v17
	v_fmac_f32_e32 v17, 0xbf5db3d7, v35
	v_add_f32_e32 v35, v20, v22
	s_delay_alu instid0(VALU_DEP_3) | instskip(SKIP_2) | instid1(VALU_DEP_4)
	v_fmac_f32_e32 v20, -0.5, v42
	v_sub_f32_e32 v42, v28, v30
	v_sub_f32_e32 v22, v22, v26
	v_add_f32_e32 v35, v35, v26
	s_delay_alu instid0(VALU_DEP_3)
	v_fmamk_f32 v43, v42, 0xbf5db3d7, v20
	v_fmac_f32_e32 v20, 0x3f5db3d7, v42
	v_add_f32_e32 v42, v4, v28
	v_add_f32_e32 v28, v28, v30
	;; [unrolled: 1-line block ×3, first 2 shown]
	v_sub_f32_e32 v60, v38, v35
	s_delay_alu instid0(VALU_DEP_4) | instskip(NEXT) | instid1(VALU_DEP_1)
	v_add_f32_e32 v42, v42, v30
	v_dual_fmac_f32 v4, -0.5, v28 :: v_dual_add_f32 v57, v39, v42
	s_delay_alu instid0(VALU_DEP_1) | instskip(SKIP_2) | instid1(VALU_DEP_3)
	v_fmamk_f32 v26, v22, 0x3f5db3d7, v4
	v_fmac_f32_e32 v4, 0xbf5db3d7, v22
	v_sub_f32_e32 v61, v39, v42
	v_mul_f32_e32 v22, 0xbf5db3d7, v26
	s_delay_alu instid0(VALU_DEP_3) | instskip(SKIP_2) | instid1(VALU_DEP_4)
	v_mul_f32_e32 v28, 0xbf5db3d7, v4
	v_mul_f32_e32 v4, -0.5, v4
	v_mul_f32_e32 v26, 0.5, v26
	v_fmac_f32_e32 v22, 0.5, v43
	s_delay_alu instid0(VALU_DEP_4) | instskip(NEXT) | instid1(VALU_DEP_4)
	v_fmac_f32_e32 v28, -0.5, v20
	v_fmac_f32_e32 v4, 0x3f5db3d7, v20
	s_delay_alu instid0(VALU_DEP_4) | instskip(NEXT) | instid1(VALU_DEP_4)
	v_fmac_f32_e32 v26, 0x3f5db3d7, v43
	v_add_f32_e32 v58, v44, v22
	s_delay_alu instid0(VALU_DEP_4)
	v_add_f32_e32 v54, v16, v28
	v_sub_f32_e32 v52, v16, v28
	v_add_f32_e32 v16, v5, v7
	v_add_f32_e32 v55, v17, v4
	v_sub_f32_e32 v53, v17, v4
	v_sub_f32_e32 v17, v6, v10
	v_add_f32_e32 v4, v18, v5
	v_fma_f32 v16, -0.5, v16, v18
	v_dual_sub_f32 v5, v5, v7 :: v_dual_sub_f32 v50, v44, v22
	s_delay_alu instid0(VALU_DEP_3) | instskip(NEXT) | instid1(VALU_DEP_3)
	v_dual_add_f32 v59, v41, v26 :: v_dual_add_f32 v4, v4, v7
	v_fmamk_f32 v18, v17, 0xbf5db3d7, v16
	v_dual_fmac_f32 v16, 0x3f5db3d7, v17 :: v_dual_add_f32 v17, v19, v6
	v_add_f32_e32 v6, v6, v10
	v_add_f32_e32 v7, v2, v34
	v_sub_f32_e32 v51, v41, v26
	s_delay_alu instid0(VALU_DEP_4) | instskip(NEXT) | instid1(VALU_DEP_4)
	v_add_f32_e32 v17, v17, v10
	v_fmac_f32_e32 v19, -0.5, v6
	s_delay_alu instid0(VALU_DEP_1) | instskip(SKIP_3) | instid1(VALU_DEP_1)
	v_fmamk_f32 v6, v5, 0x3f5db3d7, v19
	v_fmac_f32_e32 v19, 0xbf5db3d7, v5
	v_dual_add_f32 v5, v0, v2 :: v_dual_fmac_f32 v0, -0.5, v7
	v_dual_sub_f32 v7, v3, v40 :: v_dual_sub_f32 v2, v2, v34
	v_dual_add_f32 v5, v5, v34 :: v_dual_fmamk_f32 v10, v7, 0xbf5db3d7, v0
	v_fmac_f32_e32 v0, 0x3f5db3d7, v7
	v_add_f32_e32 v7, v1, v3
	s_delay_alu instid0(VALU_DEP_3) | instskip(SKIP_2) | instid1(VALU_DEP_4)
	v_dual_add_f32 v3, v3, v40 :: v_dual_add_f32 v46, v4, v5
	v_sub_f32_e32 v44, v4, v5
	v_add_f32_e32 v4, v31, v33
	v_add_f32_e32 v7, v7, v40
	s_delay_alu instid0(VALU_DEP_4) | instskip(SKIP_1) | instid1(VALU_DEP_4)
	v_fmac_f32_e32 v1, -0.5, v3
	v_sub_f32_e32 v5, v29, v32
	v_fma_f32 v4, -0.5, v4, v13
	s_delay_alu instid0(VALU_DEP_4) | instskip(NEXT) | instid1(VALU_DEP_4)
	v_add_f32_e32 v47, v17, v7
	v_fmamk_f32 v3, v2, 0x3f5db3d7, v1
	v_fmac_f32_e32 v1, 0xbf5db3d7, v2
	v_sub_f32_e32 v45, v17, v7
	s_delay_alu instid0(VALU_DEP_3) | instskip(NEXT) | instid1(VALU_DEP_3)
	v_dual_add_f32 v7, v23, v36 :: v_dual_mul_f32 v2, 0xbf5db3d7, v3
	v_mul_f32_e32 v20, 0xbf5db3d7, v1
	v_mul_f32_e32 v1, -0.5, v1
	s_delay_alu instid0(VALU_DEP_3) | instskip(NEXT) | instid1(VALU_DEP_3)
	v_dual_mul_f32 v3, 0.5, v3 :: v_dual_fmac_f32 v2, 0.5, v10
	v_fmac_f32_e32 v20, -0.5, v0
	s_delay_alu instid0(VALU_DEP_3) | instskip(NEXT) | instid1(VALU_DEP_3)
	v_fmac_f32_e32 v1, 0x3f5db3d7, v0
	v_dual_fmac_f32 v3, 0x3f5db3d7, v10 :: v_dual_add_f32 v0, v12, v29
	s_delay_alu instid0(VALU_DEP_4) | instskip(NEXT) | instid1(VALU_DEP_3)
	v_add_f32_e32 v48, v18, v2
	v_dual_sub_f32 v38, v18, v2 :: v_dual_add_f32 v41, v19, v1
	v_sub_f32_e32 v43, v19, v1
	v_add_f32_e32 v1, v29, v32
	v_add_f32_e32 v49, v6, v3
	v_dual_sub_f32 v39, v6, v3 :: v_dual_fmamk_f32 v6, v5, 0x3f5db3d7, v4
	v_fmac_f32_e32 v4, 0xbf5db3d7, v5
	s_delay_alu instid0(VALU_DEP_4)
	v_fma_f32 v1, -0.5, v1, v12
	v_add_f32_e32 v5, v11, v23
	v_fmac_f32_e32 v11, -0.5, v7
	v_sub_f32_e32 v7, v27, v37
	v_add_f32_e32 v12, v27, v37
	v_sub_f32_e32 v2, v31, v33
	v_add_f32_e32 v40, v16, v20
	v_sub_f32_e32 v42, v16, v20
	v_fmamk_f32 v10, v7, 0xbf5db3d7, v11
	v_fmac_f32_e32 v11, 0x3f5db3d7, v7
	v_add_f32_e32 v7, v21, v27
	v_fmac_f32_e32 v21, -0.5, v12
	v_dual_sub_f32 v12, v23, v36 :: v_dual_fmamk_f32 v3, v2, 0xbf5db3d7, v1
	v_dual_fmac_f32 v1, 0x3f5db3d7, v2 :: v_dual_add_f32 v2, v13, v31
	s_delay_alu instid0(VALU_DEP_4) | instskip(NEXT) | instid1(VALU_DEP_3)
	v_add_f32_e32 v7, v7, v37
	v_fmamk_f32 v13, v12, 0x3f5db3d7, v21
	v_fmac_f32_e32 v21, 0xbf5db3d7, v12
	v_add_f32_e32 v0, v0, v32
	v_dual_add_f32 v2, v2, v33 :: v_dual_add_f32 v5, v5, v36
	s_delay_alu instid0(VALU_DEP_4) | instskip(NEXT) | instid1(VALU_DEP_4)
	v_mul_f32_e32 v12, 0xbf5db3d7, v13
	v_mul_f32_e32 v16, 0xbf5db3d7, v21
	v_mul_f32_e32 v13, 0.5, v13
	s_delay_alu instid0(VALU_DEP_4) | instskip(NEXT) | instid1(VALU_DEP_4)
	v_add_f32_e32 v35, v2, v7
	v_dual_sub_f32 v33, v2, v7 :: v_dual_fmac_f32 v12, 0.5, v10
	s_delay_alu instid0(VALU_DEP_3) | instskip(SKIP_2) | instid1(VALU_DEP_4)
	v_dual_fmac_f32 v16, -0.5, v11 :: v_dual_fmac_f32 v13, 0x3f5db3d7, v10
	v_mul_f32_e32 v10, -0.5, v21
	v_sub_f32_e32 v2, v69, v80
	v_add_f32_e32 v36, v3, v12
	s_delay_alu instid0(VALU_DEP_4)
	v_add_f32_e32 v28, v1, v16
	v_sub_f32_e32 v30, v1, v16
	v_fmac_f32_e32 v10, 0x3f5db3d7, v11
	v_add_f32_e32 v1, v68, v71
	v_dual_add_f32 v37, v6, v13 :: v_dual_sub_f32 v26, v3, v12
	v_sub_f32_e32 v27, v6, v13
	s_delay_alu instid0(VALU_DEP_4)
	v_add_f32_e32 v29, v4, v10
	v_sub_f32_e32 v31, v4, v10
	v_fma_f32 v1, -0.5, v1, v14
	v_add_f32_e32 v4, v69, v80
	v_add_f32_e32 v6, v62, v81
	v_add_f32_e32 v34, v0, v5
	s_delay_alu instid0(VALU_DEP_4) | instskip(SKIP_4) | instid1(VALU_DEP_3)
	v_dual_sub_f32 v32, v0, v5 :: v_dual_fmamk_f32 v3, v2, 0xbf5db3d7, v1
	v_dual_fmac_f32 v1, 0x3f5db3d7, v2 :: v_dual_add_f32 v2, v15, v69
	v_dual_fmac_f32 v15, -0.5, v4 :: v_dual_sub_f32 v4, v68, v71
	v_add_f32_e32 v10, v63, v82
	v_add_f32_e32 v0, v14, v68
	v_dual_add_f32 v2, v2, v80 :: v_dual_fmamk_f32 v5, v4, 0x3f5db3d7, v15
	v_dual_fmac_f32 v15, 0xbf5db3d7, v4 :: v_dual_add_f32 v4, v25, v62
	v_fmac_f32_e32 v25, -0.5, v6
	v_sub_f32_e32 v6, v63, v82
	v_add_f32_e32 v0, v0, v71
	s_delay_alu instid0(VALU_DEP_2) | instskip(SKIP_3) | instid1(VALU_DEP_4)
	v_dual_add_f32 v4, v4, v81 :: v_dual_fmamk_f32 v7, v6, 0xbf5db3d7, v25
	v_dual_fmac_f32 v25, 0x3f5db3d7, v6 :: v_dual_add_f32 v6, v64, v63
	v_fmac_f32_e32 v64, -0.5, v10
	v_sub_f32_e32 v10, v62, v81
	v_add_f32_e32 v22, v0, v4
	v_sub_f32_e32 v20, v0, v4
	v_add_f32_e32 v6, v6, v82
	s_delay_alu instid0(VALU_DEP_4) | instskip(SKIP_1) | instid1(VALU_DEP_3)
	v_dual_add_f32 v0, v8, v76 :: v_dual_fmamk_f32 v11, v10, 0x3f5db3d7, v64
	v_fmac_f32_e32 v64, 0xbf5db3d7, v10
	v_add_f32_e32 v23, v2, v6
	s_delay_alu instid0(VALU_DEP_3) | instskip(NEXT) | instid1(VALU_DEP_3)
	v_dual_sub_f32 v21, v2, v6 :: v_dual_mul_f32 v10, 0xbf5db3d7, v11
	v_dual_mul_f32 v12, 0xbf5db3d7, v64 :: v_dual_mul_f32 v11, 0.5, v11
	v_sub_f32_e32 v2, v77, v73
	v_add_f32_e32 v0, v0, v72
	s_delay_alu instid0(VALU_DEP_4) | instskip(NEXT) | instid1(VALU_DEP_4)
	v_fmac_f32_e32 v10, 0.5, v7
	v_dual_fmac_f32 v12, -0.5, v25 :: v_dual_fmac_f32 v11, 0x3f5db3d7, v7
	s_delay_alu instid0(VALU_DEP_2) | instskip(NEXT) | instid1(VALU_DEP_2)
	v_dual_mul_f32 v7, -0.5, v64 :: v_dual_add_f32 v62, v3, v10
	v_add_f32_e32 v18, v1, v12
	v_sub_f32_e32 v14, v1, v12
	v_add_f32_e32 v1, v76, v72
	v_add_f32_e32 v63, v5, v11
	v_sub_f32_e32 v17, v5, v11
	v_dual_fmac_f32 v7, 0x3f5db3d7, v25 :: v_dual_sub_f32 v16, v3, v10
	s_delay_alu instid0(VALU_DEP_4) | instskip(NEXT) | instid1(VALU_DEP_2)
	v_fma_f32 v1, -0.5, v1, v8
	v_add_f32_e32 v19, v15, v7
	s_delay_alu instid0(VALU_DEP_2) | instskip(SKIP_1) | instid1(VALU_DEP_1)
	v_dual_sub_f32 v15, v15, v7 :: v_dual_fmamk_f32 v4, v2, 0xbf5db3d7, v1
	v_dual_fmac_f32 v1, 0x3f5db3d7, v2 :: v_dual_add_f32 v2, v9, v77
	v_add_f32_e32 v5, v2, v73
	v_dual_add_f32 v2, v77, v73 :: v_dual_add_nc_u32 v77, 0x2400, v24
	s_delay_alu instid0(VALU_DEP_1) | instskip(NEXT) | instid1(VALU_DEP_1)
	v_dual_fmac_f32 v9, -0.5, v2 :: v_dual_sub_f32 v2, v76, v72
	v_fmamk_f32 v8, v2, 0x3f5db3d7, v9
	v_dual_fmac_f32 v9, 0xbf5db3d7, v2 :: v_dual_add_f32 v2, v65, v67
	s_delay_alu instid0(VALU_DEP_1) | instskip(SKIP_1) | instid1(VALU_DEP_2)
	v_add_f32_e32 v6, v2, v74
	v_add_f32_e32 v2, v67, v74
	;; [unrolled: 1-line block ×3, first 2 shown]
	s_delay_alu instid0(VALU_DEP_2) | instskip(NEXT) | instid1(VALU_DEP_1)
	v_dual_fmac_f32 v65, -0.5, v2 :: v_dual_sub_f32 v2, v70, v75
	v_dual_sub_f32 v6, v0, v6 :: v_dual_fmamk_f32 v3, v2, 0xbf5db3d7, v65
	v_fmac_f32_e32 v65, 0x3f5db3d7, v2
	v_add_f32_e32 v2, v66, v70
	s_delay_alu instid0(VALU_DEP_1) | instskip(SKIP_1) | instid1(VALU_DEP_1)
	v_add_f32_e32 v7, v2, v75
	v_add_f32_e32 v2, v70, v75
	v_dual_add_f32 v11, v5, v7 :: v_dual_fmac_f32 v66, -0.5, v2
	v_dual_sub_f32 v2, v67, v74 :: v_dual_sub_f32 v7, v5, v7
	s_delay_alu instid0(VALU_DEP_1) | instskip(NEXT) | instid1(VALU_DEP_1)
	v_fmamk_f32 v13, v2, 0x3f5db3d7, v66
	v_dual_fmac_f32 v66, 0xbf5db3d7, v2 :: v_dual_mul_f32 v25, 0xbf5db3d7, v13
	s_delay_alu instid0(VALU_DEP_1) | instskip(NEXT) | instid1(VALU_DEP_2)
	v_dual_mul_f32 v64, 0xbf5db3d7, v66 :: v_dual_mul_f32 v67, 0.5, v13
	v_dual_mul_f32 v66, -0.5, v66 :: v_dual_fmac_f32 v25, 0.5, v3
	s_delay_alu instid0(VALU_DEP_2) | instskip(NEXT) | instid1(VALU_DEP_2)
	v_dual_fmac_f32 v64, -0.5, v65 :: v_dual_fmac_f32 v67, 0x3f5db3d7, v3
	v_fmac_f32_e32 v66, 0x3f5db3d7, v65
	s_delay_alu instid0(VALU_DEP_3) | instskip(NEXT) | instid1(VALU_DEP_3)
	v_add_f32_e32 v12, v4, v25
	v_dual_add_f32 v2, v1, v64 :: v_dual_add_f32 v13, v8, v67
	v_sub_f32_e32 v0, v4, v25
	v_dual_sub_f32 v4, v1, v64 :: v_dual_sub_f32 v1, v8, v67
	scratch_load_b32 v8, off, off offset:404 th:TH_LOAD_LU ; 4-byte Folded Reload
	s_wait_loadcnt 0x0
	ds_store_2addr_b64 v8, v[56:57], v[58:59] offset1:60
	ds_store_2addr_b64 v8, v[54:55], v[60:61] offset0:120 offset1:180
	scratch_load_b32 v8, off, off offset:280 th:TH_LOAD_LU ; 4-byte Folded Reload
	v_add_f32_e32 v3, v9, v66
	v_sub_f32_e32 v5, v9, v66
	s_wait_loadcnt 0x0
	ds_store_2addr_b64 v8, v[50:51], v[52:53] offset0:112 offset1:172
	scratch_load_b32 v8, off, off offset:300 th:TH_LOAD_LU ; 4-byte Folded Reload
	s_wait_loadcnt 0x0
	ds_store_2addr_b64 v8, v[46:47], v[48:49] offset1:60
	ds_store_2addr_b64 v8, v[40:41], v[44:45] offset0:120 offset1:180
	scratch_load_b32 v8, off, off offset:284 th:TH_LOAD_LU ; 4-byte Folded Reload
	s_wait_loadcnt 0x0
	ds_store_2addr_b64 v8, v[38:39], v[42:43] offset0:112 offset1:172
	scratch_load_b32 v8, off, off offset:392 th:TH_LOAD_LU ; 4-byte Folded Reload
	s_wait_loadcnt 0x0
	ds_store_2addr_b64 v8, v[34:35], v[36:37] offset1:60
	ds_store_2addr_b64 v8, v[28:29], v[32:33] offset0:120 offset1:180
	scratch_load_b32 v8, off, off offset:356 th:TH_LOAD_LU ; 4-byte Folded Reload
	s_wait_loadcnt 0x0
	ds_store_2addr_b64 v8, v[26:27], v[30:31] offset0:112 offset1:172
	scratch_load_b32 v8, off, off offset:396 th:TH_LOAD_LU ; 4-byte Folded Reload
	s_wait_loadcnt 0x0
	ds_store_2addr_b64 v8, v[22:23], v[62:63] offset1:60
	ds_store_2addr_b64 v8, v[18:19], v[20:21] offset0:120 offset1:180
	scratch_load_b32 v8, off, off offset:380 th:TH_LOAD_LU ; 4-byte Folded Reload
	s_wait_loadcnt 0x0
	ds_store_2addr_b64 v8, v[16:17], v[14:15] offset0:112 offset1:172
	scratch_load_b32 v8, off, off offset:424 th:TH_LOAD_LU ; 4-byte Folded Reload
	s_wait_loadcnt 0x0
	ds_store_2addr_b64 v8, v[10:11], v[12:13] offset1:60
	ds_store_2addr_b64 v8, v[2:3], v[6:7] offset0:120 offset1:180
	scratch_load_b32 v2, off, off offset:416 th:TH_LOAD_LU ; 4-byte Folded Reload
	s_wait_loadcnt 0x0
	ds_store_2addr_b64 v2, v[0:1], v[4:5] offset0:112 offset1:172
	global_wb scope:SCOPE_SE
	s_wait_dscnt 0x0
	s_barrier_signal -1
	s_barrier_wait -1
	global_inv scope:SCOPE_SE
	ds_load_2addr_b64 v[0:3], v24 offset1:96
	ds_load_2addr_b64 v[4:7], v234 offset0:64 offset1:160
	ds_load_2addr_b64 v[8:11], v210 offset1:96
	ds_load_2addr_b64 v[12:15], v233 offset0:64 offset1:160
	ds_load_2addr_b64 v[16:19], v151 offset0:64 offset1:160
	;; [unrolled: 1-line block ×6, first 2 shown]
	ds_load_2addr_b64 v[37:40], v236 offset1:96
	ds_load_2addr_b64 v[41:44], v244 offset1:96
	ds_load_2addr_b64 v[45:48], v237 offset0:64 offset1:160
	ds_load_2addr_b64 v[49:52], v150 offset0:64 offset1:160
	;; [unrolled: 1-line block ×4, first 2 shown]
	scratch_load_b64 v[62:63], off, off offset:408 th:TH_LOAD_LU ; 8-byte Folded Reload
	s_wait_dscnt 0x0
	v_dual_mul_f32 v74, v220, v58 :: v_dual_mul_f32 v75, v255, v60
	s_delay_alu instid0(VALU_DEP_1) | instskip(SKIP_2) | instid1(VALU_DEP_1)
	v_dual_fmac_f32 v74, v219, v57 :: v_dual_fmac_f32 v75, v254, v59
	s_wait_loadcnt 0x0
	v_mul_f32_e32 v61, v63, v7
	v_fmac_f32_e32 v61, v62, v6
	v_mul_f32_e32 v6, v63, v6
	scratch_load_b64 v[63:64], off, off offset:384 th:TH_LOAD_LU ; 8-byte Folded Reload
	v_fma_f32 v7, v62, v7, -v6
	s_delay_alu instid0(VALU_DEP_1) | instskip(NEXT) | instid1(VALU_DEP_1)
	v_sub_f32_e32 v7, v1, v7
	v_fma_f32 v1, v1, 2.0, -v7
	s_wait_loadcnt 0x0
	v_mul_f32_e32 v62, v64, v9
	v_mul_f32_e32 v6, v64, v8
	scratch_load_b64 v[64:65], off, off offset:372 th:TH_LOAD_LU ; 8-byte Folded Reload
	v_fmac_f32_e32 v62, v63, v8
	v_fma_f32 v9, v63, v9, -v6
	s_delay_alu instid0(VALU_DEP_1) | instskip(NEXT) | instid1(VALU_DEP_1)
	v_dual_sub_f32 v8, v2, v62 :: v_dual_sub_f32 v9, v3, v9
	v_fma_f32 v2, v2, 2.0, -v8
	s_delay_alu instid0(VALU_DEP_2)
	v_fma_f32 v3, v3, 2.0, -v9
	s_wait_loadcnt 0x0
	v_mul_f32_e32 v63, v65, v11
	v_mul_f32_e32 v6, v65, v10
	scratch_load_b64 v[65:66], off, off offset:452 th:TH_LOAD_LU ; 8-byte Folded Reload
	v_fmac_f32_e32 v63, v64, v10
	v_fma_f32 v11, v64, v11, -v6
	s_delay_alu instid0(VALU_DEP_2) | instskip(NEXT) | instid1(VALU_DEP_2)
	v_sub_f32_e32 v10, v12, v63
	v_sub_f32_e32 v11, v13, v11
	s_delay_alu instid0(VALU_DEP_2) | instskip(NEXT) | instid1(VALU_DEP_2)
	v_fma_f32 v12, v12, 2.0, -v10
	v_fma_f32 v13, v13, 2.0, -v11
	s_wait_loadcnt 0x0
	v_mul_f32_e32 v64, v66, v17
	v_mul_f32_e32 v6, v66, v16
	scratch_load_b64 v[66:67], off, off offset:444 th:TH_LOAD_LU ; 8-byte Folded Reload
	v_fmac_f32_e32 v64, v65, v16
	v_fma_f32 v17, v65, v17, -v6
	s_delay_alu instid0(VALU_DEP_1) | instskip(NEXT) | instid1(VALU_DEP_1)
	v_dual_sub_f32 v16, v14, v64 :: v_dual_sub_f32 v17, v15, v17
	v_fma_f32 v14, v14, 2.0, -v16
	s_delay_alu instid0(VALU_DEP_2)
	v_fma_f32 v15, v15, 2.0, -v17
	s_wait_loadcnt 0x0
	v_mul_f32_e32 v65, v67, v19
	v_mul_f32_e32 v6, v67, v18
	scratch_load_b64 v[67:68], off, off offset:436 th:TH_LOAD_LU ; 8-byte Folded Reload
	v_fmac_f32_e32 v65, v66, v18
	v_fma_f32 v19, v66, v19, -v6
	s_delay_alu instid0(VALU_DEP_1) | instskip(NEXT) | instid1(VALU_DEP_1)
	v_dual_sub_f32 v18, v20, v65 :: v_dual_sub_f32 v19, v21, v19
	v_fma_f32 v20, v20, 2.0, -v18
	s_delay_alu instid0(VALU_DEP_2)
	v_fma_f32 v21, v21, 2.0, -v19
	s_wait_loadcnt 0x0
	v_mul_f32_e32 v66, v68, v26
	v_mul_f32_e32 v6, v68, v25
	scratch_load_b64 v[68:69], off, off offset:428 th:TH_LOAD_LU ; 8-byte Folded Reload
	v_fmac_f32_e32 v66, v67, v25
	v_fma_f32 v26, v67, v26, -v6
	s_delay_alu instid0(VALU_DEP_2) | instskip(NEXT) | instid1(VALU_DEP_2)
	v_sub_f32_e32 v25, v22, v66
	v_sub_f32_e32 v26, v23, v26
	s_delay_alu instid0(VALU_DEP_2) | instskip(NEXT) | instid1(VALU_DEP_2)
	v_fma_f32 v22, v22, 2.0, -v25
	v_fma_f32 v23, v23, 2.0, -v26
	s_wait_loadcnt 0x0
	v_mul_f32_e32 v67, v69, v28
	v_mul_f32_e32 v6, v69, v27
	scratch_load_b64 v[69:70], off, off offset:460 th:TH_LOAD_LU ; 8-byte Folded Reload
	v_fmac_f32_e32 v67, v68, v27
	v_fma_f32 v28, v68, v28, -v6
	s_delay_alu instid0(VALU_DEP_1) | instskip(NEXT) | instid1(VALU_DEP_1)
	v_dual_sub_f32 v27, v29, v67 :: v_dual_sub_f32 v28, v30, v28
	v_fma_f32 v29, v29, 2.0, -v27
	s_delay_alu instid0(VALU_DEP_2)
	v_fma_f32 v30, v30, 2.0, -v28
	s_wait_loadcnt 0x0
	v_mul_f32_e32 v68, v70, v34
	v_mul_f32_e32 v6, v70, v33
	scratch_load_b64 v[70:71], off, off offset:532 th:TH_LOAD_LU ; 8-byte Folded Reload
	v_fmac_f32_e32 v68, v69, v33
	v_fma_f32 v34, v69, v34, -v6
	s_delay_alu instid0(VALU_DEP_1) | instskip(NEXT) | instid1(VALU_DEP_1)
	v_dual_sub_f32 v33, v31, v68 :: v_dual_sub_f32 v34, v32, v34
	v_fma_f32 v31, v31, 2.0, -v33
	s_delay_alu instid0(VALU_DEP_2)
	;; [unrolled: 11-line block ×3, first 2 shown]
	v_fma_f32 v38, v38, 2.0, -v36
	s_wait_loadcnt 0x0
	v_mul_f32_e32 v70, v72, v42
	v_mul_f32_e32 v6, v72, v41
	scratch_load_b64 v[72:73], off, off offset:556 th:TH_LOAD_LU ; 8-byte Folded Reload
	global_wb scope:SCOPE_SE
	s_wait_loadcnt 0x0
	s_barrier_signal -1
	v_fmac_f32_e32 v70, v71, v41
	v_fma_f32 v42, v71, v42, -v6
	s_barrier_wait -1
	global_inv scope:SCOPE_SE
	v_sub_f32_e32 v41, v39, v70
	v_sub_f32_e32 v42, v40, v42
	s_delay_alu instid0(VALU_DEP_2) | instskip(NEXT) | instid1(VALU_DEP_2)
	v_fma_f32 v39, v39, 2.0, -v41
	v_fma_f32 v40, v40, 2.0, -v42
	v_mul_f32_e32 v6, v73, v43
	v_mul_f32_e32 v71, v73, v44
	;; [unrolled: 1-line block ×3, first 2 shown]
	s_delay_alu instid0(VALU_DEP_3) | instskip(NEXT) | instid1(VALU_DEP_3)
	v_fma_f32 v44, v72, v44, -v6
	v_dual_mul_f32 v6, v253, v49 :: v_dual_fmac_f32 v71, v72, v43
	s_delay_alu instid0(VALU_DEP_3) | instskip(NEXT) | instid1(VALU_DEP_3)
	v_dual_mul_f32 v72, v253, v50 :: v_dual_fmac_f32 v73, v250, v51
	v_sub_f32_e32 v44, v46, v44
	s_delay_alu instid0(VALU_DEP_3) | instskip(SKIP_1) | instid1(VALU_DEP_4)
	v_fma_f32 v50, v252, v50, -v6
	v_mul_f32_e32 v6, v251, v51
	v_dual_sub_f32 v43, v45, v71 :: v_dual_fmac_f32 v72, v252, v49
	s_delay_alu instid0(VALU_DEP_4) | instskip(NEXT) | instid1(VALU_DEP_4)
	v_fma_f32 v46, v46, 2.0, -v44
	v_sub_f32_e32 v50, v48, v50
	s_delay_alu instid0(VALU_DEP_4)
	v_fma_f32 v52, v250, v52, -v6
	v_mul_f32_e32 v6, v220, v57
	v_fma_f32 v45, v45, 2.0, -v43
	v_sub_f32_e32 v49, v47, v72
	v_fma_f32 v48, v48, 2.0, -v50
	v_sub_f32_e32 v51, v53, v73
	v_fma_f32 v58, v219, v58, -v6
	v_mul_f32_e32 v6, v255, v59
	v_fma_f32 v47, v47, 2.0, -v49
	v_sub_f32_e32 v52, v54, v52
	v_fma_f32 v53, v53, 2.0, -v51
	v_sub_f32_e32 v57, v55, v74
	v_fma_f32 v60, v254, v60, -v6
	v_sub_f32_e32 v6, v0, v61
	v_fma_f32 v54, v54, 2.0, -v52
	v_sub_f32_e32 v58, v56, v58
	v_fma_f32 v55, v55, 2.0, -v57
	;; [unrolled: 2-line block ×3, first 2 shown]
	ds_store_b64 v24, v[6:7] offset:2880
	ds_store_2addr_b64 v24, v[0:1], v[2:3] offset1:96
	ds_store_b64 v24, v[12:13] offset:1536
	v_add_nc_u32_e32 v0, 0xc00, v24
	v_fma_f32 v56, v56, 2.0, -v58
	v_sub_f32_e32 v60, v5, v60
	v_fma_f32 v4, v4, 2.0, -v59
	ds_store_2addr_b64 v0, v[8:9], v[10:11] offset0:72 offset1:168
	scratch_load_b32 v0, off, off offset:508 th:TH_LOAD_LU ; 4-byte Folded Reload
	s_wait_loadcnt 0x0
	ds_store_b64 v0, v[14:15]
	ds_store_b64 v0, v[16:17] offset:2880
	v_add_nc_u32_e32 v0, 0x1400, v24
	ds_store_2addr_b64 v0, v[20:21], v[22:23] offset0:104 offset1:200
	ds_store_2addr_b64 v237, v[29:30], v[18:19] offset0:40 offset1:208
	scratch_load_b32 v0, off, off offset:488 th:TH_LOAD_LU ; 4-byte Folded Reload
	ds_store_2addr_b64 v77, v[25:26], v[27:28] offset0:48 offset1:144
	s_wait_loadcnt 0x0
	ds_store_b64 v0, v[31:32]
	ds_store_b64 v0, v[33:34] offset:2880
	scratch_load_b32 v0, off, off offset:476 th:TH_LOAD_LU ; 4-byte Folded Reload
	s_wait_loadcnt 0x0
	ds_store_b64 v0, v[37:38] offset:11520
	ds_store_b64 v0, v[35:36] offset:14400
	scratch_load_b32 v0, off, off offset:480 th:TH_LOAD_LU ; 4-byte Folded Reload
	s_wait_loadcnt 0x0
	ds_store_b64 v0, v[39:40] offset:11520
	;; [unrolled: 4-line block ×3, first 2 shown]
	ds_store_b64 v0, v[43:44] offset:14400
	scratch_load_b32 v0, off, off offset:504 th:TH_LOAD_LU ; 4-byte Folded Reload
	s_wait_loadcnt 0x0
	ds_store_b64 v0, v[47:48]
	ds_store_b64 v0, v[49:50] offset:2880
	scratch_load_b32 v0, off, off offset:492 th:TH_LOAD_LU ; 4-byte Folded Reload
	s_wait_loadcnt 0x0
	ds_store_b64 v0, v[53:54] offset:17280
	ds_store_b64 v0, v[51:52] offset:20160
	scratch_load_b32 v0, off, off offset:496 th:TH_LOAD_LU ; 4-byte Folded Reload
	s_wait_loadcnt 0x0
	ds_store_b64 v0, v[55:56] offset:17280
	ds_store_b64 v0, v[57:58] offset:20160
	scratch_load_b32 v0, off, off offset:500 th:TH_LOAD_LU ; 4-byte Folded Reload
	v_fma_f32 v5, v5, 2.0, -v60
	s_wait_loadcnt 0x0
	ds_store_b64 v0, v[4:5] offset:17280
	ds_store_b64 v0, v[59:60] offset:20160
	global_wb scope:SCOPE_SE
	s_wait_dscnt 0x0
	s_barrier_signal -1
	s_barrier_wait -1
	global_inv scope:SCOPE_SE
	ds_load_2addr_b64 v[0:3], v24 offset1:96
	ds_load_2addr_b64 v[4:7], v234 offset0:64 offset1:160
	ds_load_2addr_b64 v[8:11], v210 offset1:96
	ds_load_2addr_b64 v[12:15], v233 offset0:64 offset1:160
	ds_load_2addr_b64 v[16:19], v151 offset0:64 offset1:160
	;; [unrolled: 1-line block ×6, first 2 shown]
	ds_load_2addr_b64 v[37:40], v236 offset1:96
	ds_load_2addr_b64 v[41:44], v244 offset1:96
	ds_load_2addr_b64 v[45:48], v237 offset0:64 offset1:160
	ds_load_2addr_b64 v[49:52], v150 offset0:64 offset1:160
	;; [unrolled: 1-line block ×4, first 2 shown]
	scratch_load_b64 v[73:74], off, off offset:548 th:TH_LOAD_LU ; 8-byte Folded Reload
	global_wb scope:SCOPE_SE
	s_wait_loadcnt_dscnt 0x0
	s_barrier_signal -1
	s_barrier_wait -1
	global_inv scope:SCOPE_SE
	v_dual_mul_f32 v61, v247, v7 :: v_dual_mul_f32 v62, v222, v9
	v_dual_mul_f32 v63, v224, v11 :: v_dual_mul_f32 v64, v226, v17
	v_mul_f32_e32 v65, v228, v19
	s_delay_alu instid0(VALU_DEP_3) | instskip(SKIP_3) | instid1(VALU_DEP_3)
	v_fmac_f32_e32 v61, v246, v6
	v_mul_f32_e32 v6, v247, v6
	v_dual_mul_f32 v66, v239, v26 :: v_dual_mul_f32 v67, v241, v28
	v_dual_mul_f32 v68, v230, v34 :: v_dual_mul_f32 v69, v232, v36
	v_fma_f32 v7, v246, v7, -v6
	v_mul_f32_e32 v6, v222, v8
	v_dual_mul_f32 v70, v216, v42 :: v_dual_mul_f32 v71, v218, v44
	v_dual_fmac_f32 v62, v221, v8 :: v_dual_fmac_f32 v63, v223, v10
	s_delay_alu instid0(VALU_DEP_3) | instskip(SKIP_3) | instid1(VALU_DEP_3)
	v_fma_f32 v9, v221, v9, -v6
	v_mul_f32_e32 v6, v224, v10
	v_dual_fmac_f32 v64, v225, v16 :: v_dual_fmac_f32 v65, v227, v18
	v_dual_fmac_f32 v66, v238, v25 :: v_dual_fmac_f32 v67, v240, v27
	v_fma_f32 v11, v223, v11, -v6
	v_mul_f32_e32 v6, v226, v16
	v_mul_f32_e32 v75, v243, v60
	v_dual_sub_f32 v7, v1, v7 :: v_dual_sub_f32 v8, v2, v62
	v_sub_f32_e32 v9, v3, v9
	s_delay_alu instid0(VALU_DEP_4) | instskip(SKIP_3) | instid1(VALU_DEP_4)
	v_fma_f32 v17, v225, v17, -v6
	v_mul_f32_e32 v6, v228, v18
	v_sub_f32_e32 v10, v12, v63
	v_dual_sub_f32 v11, v13, v11 :: v_dual_sub_f32 v16, v14, v64
	v_sub_f32_e32 v17, v15, v17
	s_delay_alu instid0(VALU_DEP_4) | instskip(SKIP_3) | instid1(VALU_DEP_4)
	v_fma_f32 v19, v227, v19, -v6
	v_mul_f32_e32 v6, v239, v25
	v_dual_sub_f32 v18, v20, v65 :: v_dual_sub_f32 v25, v22, v66
	v_fma_f32 v1, v1, 2.0, -v7
	v_sub_f32_e32 v19, v21, v19
	s_delay_alu instid0(VALU_DEP_4)
	v_fma_f32 v26, v238, v26, -v6
	v_mul_f32_e32 v6, v241, v27
	v_sub_f32_e32 v27, v29, v67
	v_fma_f32 v2, v2, 2.0, -v8
	v_fma_f32 v3, v3, 2.0, -v9
	v_sub_f32_e32 v26, v23, v26
	v_fma_f32 v28, v240, v28, -v6
	v_mul_f32_e32 v6, v230, v33
	v_fma_f32 v12, v12, 2.0, -v10
	v_fma_f32 v13, v13, 2.0, -v11
	;; [unrolled: 1-line block ×3, first 2 shown]
	v_sub_f32_e32 v28, v30, v28
	v_fma_f32 v34, v229, v34, -v6
	v_mul_f32_e32 v6, v232, v35
	v_fma_f32 v15, v15, 2.0, -v17
	v_fma_f32 v20, v20, 2.0, -v18
	;; [unrolled: 1-line block ×4, first 2 shown]
	v_fma_f32 v36, v231, v36, -v6
	v_mul_f32_e32 v6, v216, v41
	v_fma_f32 v23, v23, 2.0, -v26
	v_fma_f32 v29, v29, 2.0, -v27
	;; [unrolled: 1-line block ×3, first 2 shown]
	v_fmac_f32_e32 v68, v229, v33
	v_fma_f32 v42, v215, v42, -v6
	v_mul_f32_e32 v6, v218, v43
	v_fmac_f32_e32 v69, v231, v35
	v_fmac_f32_e32 v70, v215, v41
	v_dual_sub_f32 v33, v31, v68 :: v_dual_sub_f32 v34, v32, v34
	s_delay_alu instid0(VALU_DEP_4) | instskip(SKIP_2) | instid1(VALU_DEP_4)
	v_fma_f32 v44, v217, v44, -v6
	v_fmac_f32_e32 v71, v217, v43
	v_fmac_f32_e32 v75, v242, v59
	v_fma_f32 v31, v31, 2.0, -v33
	v_fma_f32 v32, v32, 2.0, -v34
	v_dual_sub_f32 v35, v37, v69 :: v_dual_sub_f32 v36, v38, v36
	v_sub_f32_e32 v41, v39, v70
	v_dual_sub_f32 v42, v40, v42 :: v_dual_sub_f32 v43, v45, v71
	v_sub_f32_e32 v44, v46, v44
	s_delay_alu instid0(VALU_DEP_4)
	v_fma_f32 v37, v37, 2.0, -v35
	v_fma_f32 v38, v38, 2.0, -v36
	;; [unrolled: 1-line block ×6, first 2 shown]
	v_mul_f32_e32 v6, v74, v49
	v_mul_f32_e32 v72, v74, v50
	;; [unrolled: 1-line block ×3, first 2 shown]
	s_delay_alu instid0(VALU_DEP_3) | instskip(SKIP_1) | instid1(VALU_DEP_4)
	v_fma_f32 v50, v73, v50, -v6
	v_mul_f32_e32 v6, v214, v51
	v_dual_fmac_f32 v72, v73, v49 :: v_dual_mul_f32 v73, v214, v52
	s_delay_alu instid0(VALU_DEP_4) | instskip(NEXT) | instid1(VALU_DEP_4)
	v_fmac_f32_e32 v74, v248, v57
	v_sub_f32_e32 v50, v48, v50
	s_delay_alu instid0(VALU_DEP_4) | instskip(SKIP_3) | instid1(VALU_DEP_4)
	v_fma_f32 v52, v213, v52, -v6
	v_mul_f32_e32 v6, v249, v57
	v_fmac_f32_e32 v73, v213, v51
	v_sub_f32_e32 v49, v47, v72
	v_dual_sub_f32 v57, v55, v74 :: v_dual_sub_f32 v52, v54, v52
	s_delay_alu instid0(VALU_DEP_4) | instskip(NEXT) | instid1(VALU_DEP_4)
	v_fma_f32 v58, v248, v58, -v6
	v_dual_mul_f32 v6, v243, v59 :: v_dual_sub_f32 v51, v53, v73
	v_sub_f32_e32 v59, v4, v75
	v_fma_f32 v47, v47, 2.0, -v49
	s_delay_alu instid0(VALU_DEP_4) | instskip(NEXT) | instid1(VALU_DEP_4)
	v_sub_f32_e32 v58, v56, v58
	v_fma_f32 v60, v242, v60, -v6
	v_sub_f32_e32 v6, v0, v61
	v_fma_f32 v48, v48, 2.0, -v50
	v_fma_f32 v53, v53, 2.0, -v51
	;; [unrolled: 1-line block ×3, first 2 shown]
	v_sub_f32_e32 v60, v5, v60
	v_fma_f32 v0, v0, 2.0, -v6
	ds_store_b64 v24, v[6:7] offset:5760
	ds_store_2addr_b64 v24, v[0:1], v[2:3] offset1:96
	ds_store_2addr_b64 v236, v[8:9], v[10:11] offset0:48 offset1:144
	ds_store_2addr_b64 v233, v[12:13], v[14:15] offset0:64 offset1:160
	;; [unrolled: 1-line block ×4, first 2 shown]
	ds_store_b64 v24, v[29:30] offset:4608
	ds_store_2addr_b64 v77, v[25:26], v[27:28] offset0:48 offset1:144
	scratch_load_b32 v0, off, off offset:528 th:TH_LOAD_LU ; 4-byte Folded Reload
	s_wait_loadcnt 0x0
	ds_store_b64 v0, v[31:32]
	ds_store_b64 v0, v[33:34] offset:5760
	v_add_nc_u32_e32 v0, 0x2c00, v24
	v_fma_f32 v55, v55, 2.0, -v57
	v_fma_f32 v56, v56, 2.0, -v58
	;; [unrolled: 1-line block ×4, first 2 shown]
	ds_store_2addr_b64 v0, v[37:38], v[39:40] offset0:80 offset1:176
	ds_store_2addr_b64 v244, v[41:42], v[43:44] offset1:96
	ds_store_2addr_b64 v210, v[45:46], v[47:48] offset0:144 offset1:240
	ds_store_2addr_b64 v150, v[49:50], v[51:52] offset0:64 offset1:160
	;; [unrolled: 1-line block ×5, first 2 shown]
	global_wb scope:SCOPE_SE
	s_wait_dscnt 0x0
	s_barrier_signal -1
	s_barrier_wait -1
	global_inv scope:SCOPE_SE
	ds_load_2addr_b64 v[0:3], v24 offset1:96
	ds_load_2addr_b64 v[4:7], v234 offset0:64 offset1:160
	ds_load_2addr_b64 v[8:11], v210 offset1:96
	ds_load_2addr_b64 v[12:15], v233 offset0:64 offset1:160
	ds_load_2addr_b64 v[16:19], v151 offset0:64 offset1:160
	;; [unrolled: 1-line block ×6, first 2 shown]
	ds_load_2addr_b64 v[37:40], v236 offset1:96
	ds_load_2addr_b64 v[41:44], v244 offset1:96
	ds_load_2addr_b64 v[45:48], v237 offset0:64 offset1:160
	ds_load_2addr_b64 v[49:52], v150 offset0:64 offset1:160
	;; [unrolled: 1-line block ×4, first 2 shown]
	s_wait_dscnt 0xc
	v_dual_mul_f32 v61, v212, v7 :: v_dual_mul_f32 v62, v198, v9
	s_wait_dscnt 0xa
	v_dual_mul_f32 v63, v200, v11 :: v_dual_mul_f32 v64, v187, v17
	v_mul_f32_e32 v65, v181, v19
	s_delay_alu instid0(VALU_DEP_3)
	v_fmac_f32_e32 v61, v211, v6
	v_mul_f32_e32 v6, v212, v6
	s_wait_dscnt 0x8
	v_dual_mul_f32 v66, v185, v26 :: v_dual_mul_f32 v67, v179, v28
	s_wait_dscnt 0x6
	v_dual_mul_f32 v68, v183, v34 :: v_dual_mul_f32 v69, v177, v36
	v_fma_f32 v7, v211, v7, -v6
	v_mul_f32_e32 v6, v198, v8
	s_wait_dscnt 0x4
	v_dual_mul_f32 v70, v173, v42 :: v_dual_mul_f32 v71, v175, v44
	s_wait_dscnt 0x2
	v_dual_mul_f32 v72, v171, v50 :: v_dual_mul_f32 v73, v169, v52
	v_fma_f32 v9, v197, v9, -v6
	v_mul_f32_e32 v6, v200, v10
	s_wait_dscnt 0x0
	v_dual_mul_f32 v74, v167, v58 :: v_dual_mul_f32 v75, v165, v60
	v_dual_fmac_f32 v62, v197, v8 :: v_dual_fmac_f32 v63, v199, v10
	s_delay_alu instid0(VALU_DEP_3) | instskip(SKIP_3) | instid1(VALU_DEP_3)
	v_fma_f32 v11, v199, v11, -v6
	v_mul_f32_e32 v6, v187, v16
	v_dual_fmac_f32 v64, v186, v16 :: v_dual_fmac_f32 v65, v180, v18
	v_dual_fmac_f32 v66, v184, v25 :: v_dual_fmac_f32 v67, v178, v27
	v_fma_f32 v17, v186, v17, -v6
	v_mul_f32_e32 v6, v181, v18
	v_dual_fmac_f32 v68, v182, v33 :: v_dual_fmac_f32 v69, v176, v35
	v_dual_fmac_f32 v70, v172, v41 :: v_dual_fmac_f32 v71, v174, v43
	s_delay_alu instid0(VALU_DEP_3) | instskip(SKIP_3) | instid1(VALU_DEP_3)
	v_fma_f32 v19, v180, v19, -v6
	v_mul_f32_e32 v6, v185, v25
	v_dual_fmac_f32 v72, v170, v49 :: v_dual_fmac_f32 v73, v168, v51
	v_dual_fmac_f32 v74, v166, v57 :: v_dual_fmac_f32 v75, v164, v59
	v_fma_f32 v26, v184, v26, -v6
	v_mul_f32_e32 v6, v179, v27
	v_dual_sub_f32 v7, v1, v7 :: v_dual_sub_f32 v8, v2, v62
	v_dual_sub_f32 v9, v3, v9 :: v_dual_sub_f32 v10, v12, v63
	s_delay_alu instid0(VALU_DEP_3) | instskip(SKIP_3) | instid1(VALU_DEP_3)
	v_fma_f32 v28, v178, v28, -v6
	v_dual_mul_f32 v6, v183, v33 :: v_dual_sub_f32 v11, v13, v11
	v_dual_sub_f32 v16, v14, v64 :: v_dual_sub_f32 v17, v15, v17
	v_sub_f32_e32 v18, v20, v65
	v_fma_f32 v34, v182, v34, -v6
	v_mul_f32_e32 v6, v177, v35
	v_sub_f32_e32 v19, v21, v19
	v_sub_f32_e32 v25, v22, v66
	v_dual_sub_f32 v26, v23, v26 :: v_dual_sub_f32 v27, v29, v67
	s_delay_alu instid0(VALU_DEP_4) | instskip(SKIP_4) | instid1(VALU_DEP_4)
	v_fma_f32 v36, v176, v36, -v6
	v_mul_f32_e32 v6, v173, v41
	v_sub_f32_e32 v28, v30, v28
	v_dual_sub_f32 v33, v31, v68 :: v_dual_sub_f32 v34, v32, v34
	v_sub_f32_e32 v35, v37, v69
	v_fma_f32 v42, v172, v42, -v6
	v_mul_f32_e32 v6, v175, v43
	v_dual_sub_f32 v36, v38, v36 :: v_dual_sub_f32 v41, v39, v70
	s_delay_alu instid0(VALU_DEP_3) | instskip(NEXT) | instid1(VALU_DEP_3)
	v_dual_sub_f32 v43, v45, v71 :: v_dual_sub_f32 v42, v40, v42
	v_fma_f32 v44, v174, v44, -v6
	v_mul_f32_e32 v6, v171, v49
	v_sub_f32_e32 v49, v47, v72
	v_fma_f32 v1, v1, 2.0, -v7
	v_fma_f32 v2, v2, 2.0, -v8
	v_sub_f32_e32 v44, v46, v44
	v_fma_f32 v50, v170, v50, -v6
	v_mul_f32_e32 v6, v169, v51
	v_sub_f32_e32 v51, v53, v73
	v_fma_f32 v3, v3, 2.0, -v9
	v_fma_f32 v12, v12, 2.0, -v10
	v_sub_f32_e32 v50, v48, v50
	;; [unrolled: 6-line block ×4, first 2 shown]
	v_fma_f32 v60, v164, v60, -v6
	v_sub_f32_e32 v6, v0, v61
	v_fma_f32 v21, v21, 2.0, -v19
	v_fma_f32 v22, v22, 2.0, -v25
	;; [unrolled: 1-line block ×3, first 2 shown]
	v_sub_f32_e32 v60, v5, v60
	v_fma_f32 v0, v0, 2.0, -v6
	v_fma_f32 v29, v29, 2.0, -v27
	;; [unrolled: 1-line block ×19, first 2 shown]
	ds_store_b64 v24, v[6:7] offset:11520
	ds_store_2addr_b64 v24, v[0:1], v[2:3] offset1:96
	ds_store_2addr_b64 v210, v[8:9], v[10:11] offset1:96
	ds_store_2addr_b64 v233, v[12:13], v[14:15] offset0:64 offset1:160
	ds_store_2addr_b64 v151, v[16:17], v[18:19] offset0:64 offset1:160
	;; [unrolled: 1-line block ×6, first 2 shown]
	ds_store_2addr_b64 v236, v[37:38], v[39:40] offset1:96
	ds_store_2addr_b64 v244, v[41:42], v[43:44] offset1:96
	ds_store_2addr_b64 v237, v[45:46], v[47:48] offset0:64 offset1:160
	ds_store_2addr_b64 v150, v[49:50], v[51:52] offset0:64 offset1:160
	;; [unrolled: 1-line block ×3, first 2 shown]
	ds_store_b64 v24, v[4:5] offset:10752
	ds_store_2addr_b64 v235, v[57:58], v[59:60] offset0:128 offset1:224
	global_wb scope:SCOPE_SE
	s_wait_dscnt 0x0
	s_barrier_signal -1
	s_barrier_wait -1
	global_inv scope:SCOPE_SE
	s_clause 0x1
	scratch_load_b64 v[1:2], off, off offset:204 th:TH_LOAD_LU
	scratch_load_b32 v4, off, off offset:276 th:TH_LOAD_LU
	ds_load_2addr_b64 v[26:29], v24 offset1:96
	scratch_load_b32 v6, off, off offset:272 th:TH_LOAD_LU ; 4-byte Folded Reload
	ds_load_2addr_b64 v[16:19], v233 offset0:64 offset1:160
	ds_load_2addr_b64 v[12:15], v236 offset1:96
	ds_load_2addr_b64 v[8:11], v234 offset0:64 offset1:160
	s_wait_loadcnt_dscnt 0x203
	v_mul_f32_e32 v0, v2, v27
	v_mov_b32_e32 v3, v2
	v_mov_b32_e32 v2, v1
	s_delay_alu instid0(VALU_DEP_3) | instskip(NEXT) | instid1(VALU_DEP_1)
	v_fmac_f32_e32 v0, v1, v26
	v_cvt_f64_f32_e32 v[0:1], v0
	s_delay_alu instid0(VALU_DEP_1) | instskip(NEXT) | instid1(VALU_DEP_1)
	v_mul_f64_e32 v[0:1], s[4:5], v[0:1]
	v_cvt_f32_f64_e32 v0, v[0:1]
	v_mul_f32_e32 v1, v3, v26
	s_delay_alu instid0(VALU_DEP_1) | instskip(SKIP_2) | instid1(VALU_DEP_1)
	v_fma_f32 v1, v2, v27, -v1
	ds_load_2addr_b64 v[24:27], v149 offset0:64 offset1:160
	v_cvt_f64_f32_e32 v[1:2], v1
	v_mul_f64_e32 v[1:2], s[4:5], v[1:2]
	s_delay_alu instid0(VALU_DEP_1) | instskip(SKIP_2) | instid1(VALU_DEP_1)
	v_cvt_f32_f64_e32 v1, v[1:2]
	s_wait_loadcnt 0x1
	v_mad_co_u64_u32 v[2:3], null, s0, v4, 0
	v_mad_co_u64_u32 v[3:4], null, s1, v4, v[3:4]
	scratch_load_b64 v[4:5], off, off offset:172 th:TH_LOAD_LU ; 8-byte Folded Reload
	v_lshlrev_b64_e32 v[2:3], 3, v[2:3]
	s_wait_loadcnt 0x0
	v_lshlrev_b64_e32 v[4:5], 3, v[4:5]
	s_delay_alu instid0(VALU_DEP_1) | instskip(SKIP_1) | instid1(VALU_DEP_2)
	v_add_co_u32 v32, vcc_lo, s12, v4
	s_wait_alu 0xfffd
	v_add_co_ci_u32_e32 v33, vcc_lo, s13, v5, vcc_lo
	scratch_load_b64 v[4:5], off, off offset:196 th:TH_LOAD_LU ; 8-byte Folded Reload
	v_add_co_u32 v2, vcc_lo, v32, v2
	s_wait_alu 0xfffd
	v_add_co_ci_u32_e32 v3, vcc_lo, v33, v3, vcc_lo
	global_store_b64 v[2:3], v[0:1], off
	s_wait_alu 0xfffe
	v_add_co_u32 v2, vcc_lo, v2, s2
	s_wait_alu 0xfffd
	v_add_co_ci_u32_e32 v3, vcc_lo, s3, v3, vcc_lo
	s_wait_loadcnt_dscnt 0x3
	v_mul_f32_e32 v0, v5, v19
	s_delay_alu instid0(VALU_DEP_1) | instskip(NEXT) | instid1(VALU_DEP_1)
	v_fmac_f32_e32 v0, v4, v18
	v_cvt_f64_f32_e32 v[0:1], v0
	s_delay_alu instid0(VALU_DEP_1) | instskip(NEXT) | instid1(VALU_DEP_1)
	v_mul_f64_e32 v[0:1], s[4:5], v[0:1]
	v_cvt_f32_f64_e32 v0, v[0:1]
	v_mul_f32_e32 v1, v5, v18
	s_delay_alu instid0(VALU_DEP_1) | instskip(NEXT) | instid1(VALU_DEP_1)
	v_fma_f32 v1, v4, v19, -v1
	v_cvt_f64_f32_e32 v[4:5], v1
	s_delay_alu instid0(VALU_DEP_1) | instskip(NEXT) | instid1(VALU_DEP_1)
	v_mul_f64_e32 v[4:5], s[4:5], v[4:5]
	v_cvt_f32_f64_e32 v1, v[4:5]
	scratch_load_b64 v[4:5], off, off offset:188 th:TH_LOAD_LU ; 8-byte Folded Reload
	global_store_b64 v[2:3], v[0:1], off
	v_add_co_u32 v2, vcc_lo, v2, s2
	s_wait_alu 0xfffd
	v_add_co_ci_u32_e32 v3, vcc_lo, s3, v3, vcc_lo
	s_wait_loadcnt_dscnt 0x0
	v_mul_f32_e32 v0, v5, v25
	s_delay_alu instid0(VALU_DEP_1) | instskip(NEXT) | instid1(VALU_DEP_1)
	v_fmac_f32_e32 v0, v4, v24
	v_cvt_f64_f32_e32 v[0:1], v0
	s_delay_alu instid0(VALU_DEP_1) | instskip(NEXT) | instid1(VALU_DEP_1)
	v_mul_f64_e32 v[0:1], s[4:5], v[0:1]
	v_cvt_f32_f64_e32 v0, v[0:1]
	v_mul_f32_e32 v1, v5, v24
	s_delay_alu instid0(VALU_DEP_1) | instskip(SKIP_2) | instid1(VALU_DEP_1)
	v_fma_f32 v1, v4, v25, -v1
	ds_load_2addr_b64 v[22:25], v245 offset0:128 offset1:224
	v_cvt_f64_f32_e32 v[4:5], v1
	v_mul_f64_e32 v[4:5], s[4:5], v[4:5]
	s_delay_alu instid0(VALU_DEP_1)
	v_cvt_f32_f64_e32 v1, v[4:5]
	scratch_load_b64 v[4:5], off, off offset:180 th:TH_LOAD_LU ; 8-byte Folded Reload
	global_store_b64 v[2:3], v[0:1], off
	v_add_co_u32 v2, vcc_lo, v2, s2
	s_wait_alu 0xfffd
	v_add_co_ci_u32_e32 v3, vcc_lo, s3, v3, vcc_lo
	s_wait_loadcnt 0x0
	v_mul_f32_e32 v0, v5, v15
	s_delay_alu instid0(VALU_DEP_1) | instskip(NEXT) | instid1(VALU_DEP_1)
	v_fmac_f32_e32 v0, v4, v14
	v_cvt_f64_f32_e32 v[0:1], v0
	s_delay_alu instid0(VALU_DEP_1) | instskip(NEXT) | instid1(VALU_DEP_1)
	v_mul_f64_e32 v[0:1], s[4:5], v[0:1]
	v_cvt_f32_f64_e32 v0, v[0:1]
	v_mul_f32_e32 v1, v5, v14
	s_delay_alu instid0(VALU_DEP_1) | instskip(SKIP_2) | instid1(VALU_DEP_1)
	v_fma_f32 v1, v4, v15, -v1
	scratch_load_b64 v[14:15], off, off offset:256 th:TH_LOAD_LU ; 8-byte Folded Reload
	v_cvt_f64_f32_e32 v[4:5], v1
	v_mul_f64_e32 v[4:5], s[4:5], v[4:5]
	s_delay_alu instid0(VALU_DEP_1) | instskip(SKIP_4) | instid1(VALU_DEP_1)
	v_cvt_f32_f64_e32 v1, v[4:5]
	scratch_load_b64 v[4:5], off, off offset:236 th:TH_LOAD_LU ; 8-byte Folded Reload
	global_store_b64 v[2:3], v[0:1], off
	s_wait_loadcnt_dscnt 0x0
	v_mul_f32_e32 v0, v5, v23
	v_fmac_f32_e32 v0, v4, v22
	s_delay_alu instid0(VALU_DEP_1) | instskip(NEXT) | instid1(VALU_DEP_1)
	v_cvt_f64_f32_e32 v[0:1], v0
	v_mul_f64_e32 v[0:1], s[4:5], v[0:1]
	s_delay_alu instid0(VALU_DEP_1) | instskip(SKIP_1) | instid1(VALU_DEP_1)
	v_cvt_f32_f64_e32 v0, v[0:1]
	v_mul_f32_e32 v1, v5, v22
	v_fma_f32 v1, v4, v23, -v1
	ds_load_2addr_b64 v[20:23], v151 offset0:64 offset1:160
	v_cvt_f64_f32_e32 v[4:5], v1
	s_delay_alu instid0(VALU_DEP_1) | instskip(NEXT) | instid1(VALU_DEP_1)
	v_mul_f64_e32 v[4:5], s[4:5], v[4:5]
	v_cvt_f32_f64_e32 v1, v[4:5]
	v_mad_co_u64_u32 v[4:5], null, s0, v6, 0
	s_delay_alu instid0(VALU_DEP_1) | instskip(NEXT) | instid1(VALU_DEP_1)
	v_mad_co_u64_u32 v[5:6], null, s1, v6, v[5:6]
	v_lshlrev_b64_e32 v[4:5], 3, v[4:5]
	s_delay_alu instid0(VALU_DEP_1) | instskip(SKIP_1) | instid1(VALU_DEP_2)
	v_add_co_u32 v4, vcc_lo, v32, v4
	s_wait_alu 0xfffd
	v_add_co_ci_u32_e32 v5, vcc_lo, v33, v5, vcc_lo
	v_add_co_u32 v2, vcc_lo, v2, s6
	s_wait_alu 0xfffd
	v_add_co_ci_u32_e32 v3, vcc_lo, s7, v3, vcc_lo
	global_store_b64 v[4:5], v[0:1], off
	scratch_load_b64 v[4:5], off, off offset:228 th:TH_LOAD_LU ; 8-byte Folded Reload
	s_wait_loadcnt 0x0
	v_mul_f32_e32 v0, v5, v11
	s_delay_alu instid0(VALU_DEP_1) | instskip(NEXT) | instid1(VALU_DEP_1)
	v_fmac_f32_e32 v0, v4, v10
	v_cvt_f64_f32_e32 v[0:1], v0
	s_delay_alu instid0(VALU_DEP_1) | instskip(NEXT) | instid1(VALU_DEP_1)
	v_mul_f64_e32 v[0:1], s[4:5], v[0:1]
	v_cvt_f32_f64_e32 v0, v[0:1]
	v_mul_f32_e32 v1, v5, v10
	s_delay_alu instid0(VALU_DEP_1) | instskip(SKIP_2) | instid1(VALU_DEP_1)
	v_fma_f32 v1, v4, v11, -v1
	scratch_load_b64 v[10:11], off, off offset:212 th:TH_LOAD_LU ; 8-byte Folded Reload
	v_cvt_f64_f32_e32 v[4:5], v1
	v_mul_f64_e32 v[4:5], s[4:5], v[4:5]
	s_delay_alu instid0(VALU_DEP_1)
	v_cvt_f32_f64_e32 v1, v[4:5]
	scratch_load_b64 v[4:5], off, off offset:220 th:TH_LOAD_LU ; 8-byte Folded Reload
	global_store_b64 v[2:3], v[0:1], off
	v_add_co_u32 v2, vcc_lo, v2, s2
	s_wait_alu 0xfffd
	v_add_co_ci_u32_e32 v3, vcc_lo, s3, v3, vcc_lo
	s_wait_loadcnt_dscnt 0x0
	v_mul_f32_e32 v0, v5, v21
	s_delay_alu instid0(VALU_DEP_1) | instskip(NEXT) | instid1(VALU_DEP_1)
	v_fmac_f32_e32 v0, v4, v20
	v_cvt_f64_f32_e32 v[0:1], v0
	s_delay_alu instid0(VALU_DEP_1) | instskip(NEXT) | instid1(VALU_DEP_1)
	v_mul_f64_e32 v[0:1], s[4:5], v[0:1]
	v_cvt_f32_f64_e32 v0, v[0:1]
	v_mul_f32_e32 v1, v5, v20
	s_delay_alu instid0(VALU_DEP_1) | instskip(SKIP_2) | instid1(VALU_DEP_1)
	v_fma_f32 v1, v4, v21, -v1
	ds_load_2addr_b64 v[18:21], v244 offset1:96
	v_cvt_f64_f32_e32 v[4:5], v1
	v_mul_f64_e32 v[4:5], s[4:5], v[4:5]
	s_delay_alu instid0(VALU_DEP_1) | instskip(SKIP_4) | instid1(VALU_DEP_1)
	v_cvt_f32_f64_e32 v1, v[4:5]
	ds_load_2addr_b64 v[4:7], v201 offset0:128 offset1:224
	global_store_b64 v[2:3], v[0:1], off
	s_wait_dscnt 0x0
	v_mul_f32_e32 v0, v11, v7
	v_fmac_f32_e32 v0, v10, v6
	s_delay_alu instid0(VALU_DEP_1) | instskip(NEXT) | instid1(VALU_DEP_1)
	v_cvt_f64_f32_e32 v[0:1], v0
	v_mul_f64_e32 v[0:1], s[4:5], v[0:1]
	s_delay_alu instid0(VALU_DEP_1) | instskip(SKIP_1) | instid1(VALU_DEP_1)
	v_cvt_f32_f64_e32 v0, v[0:1]
	v_mul_f32_e32 v1, v11, v6
	v_fma_f32 v1, v10, v7, -v1
	scratch_load_b32 v10, off, off offset:244 th:TH_LOAD_LU ; 4-byte Folded Reload
	v_cvt_f64_f32_e32 v[6:7], v1
	s_delay_alu instid0(VALU_DEP_1) | instskip(NEXT) | instid1(VALU_DEP_1)
	v_mul_f64_e32 v[6:7], s[4:5], v[6:7]
	v_cvt_f32_f64_e32 v1, v[6:7]
	v_add_co_u32 v6, vcc_lo, v2, s2
	s_wait_alu 0xfffd
	v_add_co_ci_u32_e32 v7, vcc_lo, s3, v3, vcc_lo
	scratch_load_b64 v[2:3], off, off offset:248 th:TH_LOAD_LU ; 8-byte Folded Reload
	global_store_b64 v[6:7], v[0:1], off
	s_wait_loadcnt 0x0
	v_mul_f32_e32 v0, v3, v19
	s_delay_alu instid0(VALU_DEP_1) | instskip(NEXT) | instid1(VALU_DEP_1)
	v_fmac_f32_e32 v0, v2, v18
	v_cvt_f64_f32_e32 v[0:1], v0
	s_delay_alu instid0(VALU_DEP_1) | instskip(NEXT) | instid1(VALU_DEP_1)
	v_mul_f64_e32 v[0:1], s[4:5], v[0:1]
	v_cvt_f32_f64_e32 v0, v[0:1]
	v_mul_f32_e32 v1, v3, v18
	s_delay_alu instid0(VALU_DEP_1) | instskip(NEXT) | instid1(VALU_DEP_1)
	v_fma_f32 v1, v2, v19, -v1
	v_cvt_f64_f32_e32 v[1:2], v1
	s_delay_alu instid0(VALU_DEP_1) | instskip(NEXT) | instid1(VALU_DEP_1)
	v_mul_f64_e32 v[1:2], s[4:5], v[1:2]
	v_cvt_f32_f64_e32 v1, v[1:2]
	v_mad_co_u64_u32 v[2:3], null, s0, v10, 0
	s_delay_alu instid0(VALU_DEP_1) | instskip(NEXT) | instid1(VALU_DEP_1)
	v_mad_co_u64_u32 v[10:11], null, s1, v10, v[3:4]
	v_mov_b32_e32 v3, v10
	s_delay_alu instid0(VALU_DEP_1) | instskip(NEXT) | instid1(VALU_DEP_1)
	v_lshlrev_b64_e32 v[2:3], 3, v[2:3]
	v_add_co_u32 v2, vcc_lo, v32, v2
	s_wait_alu 0xfffd
	s_delay_alu instid0(VALU_DEP_2) | instskip(SKIP_4) | instid1(VALU_DEP_1)
	v_add_co_ci_u32_e32 v3, vcc_lo, v33, v3, vcc_lo
	global_store_b64 v[2:3], v[0:1], off
	ds_load_2addr_b64 v[0:3], v150 offset0:64 offset1:160
	s_wait_dscnt 0x0
	v_mul_f32_e32 v10, v15, v3
	v_fmac_f32_e32 v10, v14, v2
	v_mul_f32_e32 v2, v15, v2
	s_delay_alu instid0(VALU_DEP_2) | instskip(NEXT) | instid1(VALU_DEP_2)
	v_cvt_f64_f32_e32 v[10:11], v10
	v_fma_f32 v2, v14, v3, -v2
	scratch_load_b32 v14, off, off offset:264 th:TH_LOAD_LU ; 4-byte Folded Reload
	v_cvt_f64_f32_e32 v[2:3], v2
	v_mul_f64_e32 v[10:11], s[4:5], v[10:11]
	s_delay_alu instid0(VALU_DEP_2) | instskip(NEXT) | instid1(VALU_DEP_2)
	v_mul_f64_e32 v[2:3], s[4:5], v[2:3]
	v_cvt_f32_f64_e32 v10, v[10:11]
	s_delay_alu instid0(VALU_DEP_2)
	v_cvt_f32_f64_e32 v11, v[2:3]
	v_add_co_u32 v2, vcc_lo, v6, s6
	s_wait_alu 0xfffd
	v_add_co_ci_u32_e32 v3, vcc_lo, s7, v7, vcc_lo
	global_store_b64 v[2:3], v[10:11], off
	scratch_load_b64 v[10:11], off, off offset:164 th:TH_LOAD_LU ; 8-byte Folded Reload
	v_mad_co_u64_u32 v[2:3], null, 0xffffb200, s0, v[2:3]
	s_delay_alu instid0(VALU_DEP_1)
	v_add_nc_u32_e32 v3, s8, v3
	s_mul_i32 s8, s1, 0xffffbb00
	s_wait_alu 0xfffe
	s_sub_co_i32 s8, s8, s0
	s_wait_loadcnt 0x0
	v_mul_f32_e32 v6, v11, v29
	s_delay_alu instid0(VALU_DEP_1) | instskip(NEXT) | instid1(VALU_DEP_1)
	v_fmac_f32_e32 v6, v10, v28
	v_cvt_f64_f32_e32 v[6:7], v6
	s_delay_alu instid0(VALU_DEP_1) | instskip(NEXT) | instid1(VALU_DEP_1)
	v_mul_f64_e32 v[6:7], s[4:5], v[6:7]
	v_cvt_f32_f64_e32 v6, v[6:7]
	v_mul_f32_e32 v7, v11, v28
	s_delay_alu instid0(VALU_DEP_1) | instskip(SKIP_2) | instid1(VALU_DEP_1)
	v_fma_f32 v7, v10, v29, -v7
	ds_load_2addr_b64 v[28:31], v188 offset0:128 offset1:224
	v_cvt_f64_f32_e32 v[10:11], v7
	v_mul_f64_e32 v[10:11], s[4:5], v[10:11]
	s_delay_alu instid0(VALU_DEP_1) | instskip(SKIP_4) | instid1(VALU_DEP_1)
	v_cvt_f32_f64_e32 v7, v[10:11]
	scratch_load_b64 v[10:11], off, off offset:156 th:TH_LOAD_LU ; 8-byte Folded Reload
	global_store_b64 v[2:3], v[6:7], off
	s_wait_loadcnt_dscnt 0x0
	v_mul_f32_e32 v6, v11, v29
	v_fmac_f32_e32 v6, v10, v28
	s_delay_alu instid0(VALU_DEP_1) | instskip(NEXT) | instid1(VALU_DEP_1)
	v_cvt_f64_f32_e32 v[6:7], v6
	v_mul_f64_e32 v[6:7], s[4:5], v[6:7]
	s_delay_alu instid0(VALU_DEP_1) | instskip(SKIP_1) | instid1(VALU_DEP_1)
	v_cvt_f32_f64_e32 v6, v[6:7]
	v_mul_f32_e32 v7, v11, v28
	v_fma_f32 v7, v10, v29, -v7
	s_delay_alu instid0(VALU_DEP_1) | instskip(NEXT) | instid1(VALU_DEP_1)
	v_cvt_f64_f32_e32 v[10:11], v7
	v_mul_f64_e32 v[10:11], s[4:5], v[10:11]
	s_delay_alu instid0(VALU_DEP_1) | instskip(SKIP_1) | instid1(VALU_DEP_1)
	v_cvt_f32_f64_e32 v7, v[10:11]
	v_mad_co_u64_u32 v[10:11], null, s0, v14, 0
	v_mad_co_u64_u32 v[14:15], null, s1, v14, v[11:12]
	s_delay_alu instid0(VALU_DEP_1) | instskip(SKIP_2) | instid1(VALU_DEP_1)
	v_mov_b32_e32 v11, v14
	scratch_load_b32 v14, off, off offset:112 th:TH_LOAD_LU ; 4-byte Folded Reload
	v_lshlrev_b64_e32 v[10:11], 3, v[10:11]
	v_add_co_u32 v10, vcc_lo, v32, v10
	s_wait_alu 0xfffd
	s_delay_alu instid0(VALU_DEP_2)
	v_add_co_ci_u32_e32 v11, vcc_lo, v33, v11, vcc_lo
	v_add_co_u32 v2, vcc_lo, v2, s6
	s_wait_alu 0xfffd
	v_add_co_ci_u32_e32 v3, vcc_lo, s7, v3, vcc_lo
	global_store_b64 v[10:11], v[6:7], off
	scratch_load_b64 v[10:11], off, off offset:148 th:TH_LOAD_LU ; 8-byte Folded Reload
	s_wait_loadcnt 0x0
	v_mul_f32_e32 v6, v11, v27
	s_delay_alu instid0(VALU_DEP_1) | instskip(NEXT) | instid1(VALU_DEP_1)
	v_fmac_f32_e32 v6, v10, v26
	v_cvt_f64_f32_e32 v[6:7], v6
	s_delay_alu instid0(VALU_DEP_1) | instskip(NEXT) | instid1(VALU_DEP_1)
	v_mul_f64_e32 v[6:7], s[4:5], v[6:7]
	v_cvt_f32_f64_e32 v6, v[6:7]
	v_mul_f32_e32 v7, v11, v26
	s_delay_alu instid0(VALU_DEP_1) | instskip(SKIP_2) | instid1(VALU_DEP_1)
	v_fma_f32 v7, v10, v27, -v7
	ds_load_2addr_b64 v[26:29], v237 offset0:64 offset1:160
	v_cvt_f64_f32_e32 v[10:11], v7
	v_mul_f64_e32 v[10:11], s[4:5], v[10:11]
	s_delay_alu instid0(VALU_DEP_1)
	v_cvt_f32_f64_e32 v7, v[10:11]
	scratch_load_b64 v[10:11], off, off offset:140 th:TH_LOAD_LU ; 8-byte Folded Reload
	global_store_b64 v[2:3], v[6:7], off
	v_add_co_u32 v2, vcc_lo, v2, s2
	s_wait_alu 0xfffd
	v_add_co_ci_u32_e32 v3, vcc_lo, s3, v3, vcc_lo
	s_wait_loadcnt_dscnt 0x0
	v_mul_f32_e32 v6, v11, v27
	s_delay_alu instid0(VALU_DEP_1) | instskip(NEXT) | instid1(VALU_DEP_1)
	v_fmac_f32_e32 v6, v10, v26
	v_cvt_f64_f32_e32 v[6:7], v6
	s_delay_alu instid0(VALU_DEP_1) | instskip(NEXT) | instid1(VALU_DEP_1)
	v_mul_f64_e32 v[6:7], s[4:5], v[6:7]
	v_cvt_f32_f64_e32 v6, v[6:7]
	v_mul_f32_e32 v7, v11, v26
	s_delay_alu instid0(VALU_DEP_1) | instskip(NEXT) | instid1(VALU_DEP_1)
	v_fma_f32 v7, v10, v27, -v7
	v_cvt_f64_f32_e32 v[10:11], v7
	s_delay_alu instid0(VALU_DEP_1) | instskip(NEXT) | instid1(VALU_DEP_1)
	v_mul_f64_e32 v[10:11], s[4:5], v[10:11]
	v_cvt_f32_f64_e32 v7, v[10:11]
	scratch_load_b64 v[10:11], off, off offset:124 th:TH_LOAD_LU ; 8-byte Folded Reload
	global_store_b64 v[2:3], v[6:7], off
	v_add_co_u32 v2, vcc_lo, v2, s2
	s_wait_alu 0xfffd
	v_add_co_ci_u32_e32 v3, vcc_lo, s3, v3, vcc_lo
	s_wait_loadcnt 0x0
	v_mul_f32_e32 v6, v11, v25
	s_delay_alu instid0(VALU_DEP_1) | instskip(NEXT) | instid1(VALU_DEP_1)
	v_fmac_f32_e32 v6, v10, v24
	v_cvt_f64_f32_e32 v[6:7], v6
	s_delay_alu instid0(VALU_DEP_1) | instskip(NEXT) | instid1(VALU_DEP_1)
	v_mul_f64_e32 v[6:7], s[4:5], v[6:7]
	v_cvt_f32_f64_e32 v6, v[6:7]
	v_mul_f32_e32 v7, v11, v24
	s_delay_alu instid0(VALU_DEP_1) | instskip(SKIP_2) | instid1(VALU_DEP_1)
	v_fma_f32 v7, v10, v25, -v7
	ds_load_2addr_b64 v[24:27], v210 offset1:96
	v_cvt_f64_f32_e32 v[10:11], v7
	v_mul_f64_e32 v[10:11], s[4:5], v[10:11]
	s_delay_alu instid0(VALU_DEP_1) | instskip(SKIP_4) | instid1(VALU_DEP_1)
	v_cvt_f32_f64_e32 v7, v[10:11]
	scratch_load_b64 v[10:11], off, off offset:116 th:TH_LOAD_LU ; 8-byte Folded Reload
	global_store_b64 v[2:3], v[6:7], off
	s_wait_loadcnt_dscnt 0x0
	v_mul_f32_e32 v6, v11, v25
	v_fmac_f32_e32 v6, v10, v24
	s_delay_alu instid0(VALU_DEP_1) | instskip(NEXT) | instid1(VALU_DEP_1)
	v_cvt_f64_f32_e32 v[6:7], v6
	v_mul_f64_e32 v[6:7], s[4:5], v[6:7]
	s_delay_alu instid0(VALU_DEP_1) | instskip(SKIP_1) | instid1(VALU_DEP_1)
	v_cvt_f32_f64_e32 v6, v[6:7]
	v_mul_f32_e32 v7, v11, v24
	v_fma_f32 v7, v10, v25, -v7
	s_delay_alu instid0(VALU_DEP_1) | instskip(NEXT) | instid1(VALU_DEP_1)
	v_cvt_f64_f32_e32 v[10:11], v7
	v_mul_f64_e32 v[10:11], s[4:5], v[10:11]
	s_delay_alu instid0(VALU_DEP_1) | instskip(SKIP_1) | instid1(VALU_DEP_1)
	v_cvt_f32_f64_e32 v7, v[10:11]
	v_mad_co_u64_u32 v[10:11], null, s0, v14, 0
	v_mad_co_u64_u32 v[14:15], null, s1, v14, v[11:12]
	s_delay_alu instid0(VALU_DEP_1) | instskip(SKIP_2) | instid1(VALU_DEP_1)
	v_mov_b32_e32 v11, v14
	scratch_load_b32 v14, off, off offset:16 th:TH_LOAD_LU ; 4-byte Folded Reload
	v_lshlrev_b64_e32 v[10:11], 3, v[10:11]
	v_add_co_u32 v10, vcc_lo, v32, v10
	s_wait_alu 0xfffd
	s_delay_alu instid0(VALU_DEP_2)
	v_add_co_ci_u32_e32 v11, vcc_lo, v33, v11, vcc_lo
	v_add_co_u32 v2, vcc_lo, v2, s6
	s_wait_alu 0xfffd
	v_add_co_ci_u32_e32 v3, vcc_lo, s7, v3, vcc_lo
	global_store_b64 v[10:11], v[6:7], off
	scratch_load_b64 v[10:11], off, off offset:96 th:TH_LOAD_LU ; 8-byte Folded Reload
	s_wait_loadcnt 0x0
	v_mul_f32_e32 v6, v11, v23
	s_delay_alu instid0(VALU_DEP_1) | instskip(NEXT) | instid1(VALU_DEP_1)
	v_fmac_f32_e32 v6, v10, v22
	v_cvt_f64_f32_e32 v[6:7], v6
	s_delay_alu instid0(VALU_DEP_1) | instskip(NEXT) | instid1(VALU_DEP_1)
	v_mul_f64_e32 v[6:7], s[4:5], v[6:7]
	v_cvt_f32_f64_e32 v6, v[6:7]
	v_mul_f32_e32 v7, v11, v22
	s_delay_alu instid0(VALU_DEP_1) | instskip(SKIP_2) | instid1(VALU_DEP_1)
	v_fma_f32 v7, v10, v23, -v7
	ds_load_2addr_b64 v[22:25], v152 offset0:64 offset1:160
	v_cvt_f64_f32_e32 v[10:11], v7
	v_mul_f64_e32 v[10:11], s[4:5], v[10:11]
	s_delay_alu instid0(VALU_DEP_1)
	v_cvt_f32_f64_e32 v7, v[10:11]
	scratch_load_b64 v[10:11], off, off offset:88 th:TH_LOAD_LU ; 8-byte Folded Reload
	global_store_b64 v[2:3], v[6:7], off
	v_add_co_u32 v2, vcc_lo, v2, s2
	s_wait_alu 0xfffd
	v_add_co_ci_u32_e32 v3, vcc_lo, s3, v3, vcc_lo
	s_wait_loadcnt_dscnt 0x0
	v_mul_f32_e32 v6, v11, v23
	s_delay_alu instid0(VALU_DEP_1) | instskip(NEXT) | instid1(VALU_DEP_1)
	v_fmac_f32_e32 v6, v10, v22
	v_cvt_f64_f32_e32 v[6:7], v6
	s_delay_alu instid0(VALU_DEP_1) | instskip(NEXT) | instid1(VALU_DEP_1)
	v_mul_f64_e32 v[6:7], s[4:5], v[6:7]
	v_cvt_f32_f64_e32 v6, v[6:7]
	v_mul_f32_e32 v7, v11, v22
	s_delay_alu instid0(VALU_DEP_1) | instskip(NEXT) | instid1(VALU_DEP_1)
	v_fma_f32 v7, v10, v23, -v7
	v_cvt_f64_f32_e32 v[10:11], v7
	s_delay_alu instid0(VALU_DEP_1) | instskip(NEXT) | instid1(VALU_DEP_1)
	v_mul_f64_e32 v[10:11], s[4:5], v[10:11]
	v_cvt_f32_f64_e32 v7, v[10:11]
	scratch_load_b64 v[10:11], off, off offset:28 th:TH_LOAD_LU ; 8-byte Folded Reload
	global_store_b64 v[2:3], v[6:7], off
	v_add_co_u32 v2, vcc_lo, v2, s2
	s_wait_alu 0xfffd
	v_add_co_ci_u32_e32 v3, vcc_lo, s3, v3, vcc_lo
	s_wait_loadcnt 0x0
	v_mul_f32_e32 v6, v11, v21
	s_delay_alu instid0(VALU_DEP_1) | instskip(NEXT) | instid1(VALU_DEP_1)
	v_fmac_f32_e32 v6, v10, v20
	v_cvt_f64_f32_e32 v[6:7], v6
	s_delay_alu instid0(VALU_DEP_1) | instskip(NEXT) | instid1(VALU_DEP_1)
	v_mul_f64_e32 v[6:7], s[4:5], v[6:7]
	v_cvt_f32_f64_e32 v6, v[6:7]
	v_mul_f32_e32 v7, v11, v20
	s_delay_alu instid0(VALU_DEP_1) | instskip(SKIP_2) | instid1(VALU_DEP_1)
	v_fma_f32 v7, v10, v21, -v7
	ds_load_2addr_b64 v[18:21], v235 offset0:128 offset1:224
	v_cvt_f64_f32_e32 v[10:11], v7
	v_mul_f64_e32 v[10:11], s[4:5], v[10:11]
	s_delay_alu instid0(VALU_DEP_1) | instskip(SKIP_4) | instid1(VALU_DEP_1)
	v_cvt_f32_f64_e32 v7, v[10:11]
	scratch_load_b64 v[10:11], off, off offset:20 th:TH_LOAD_LU ; 8-byte Folded Reload
	global_store_b64 v[2:3], v[6:7], off
	v_mad_co_u64_u32 v[2:3], null, 0xffffbb00, s0, v[2:3]
	s_wait_alu 0xfffe
	v_add_nc_u32_e32 v3, s8, v3
	s_wait_loadcnt_dscnt 0x0
	v_mul_f32_e32 v6, v11, v19
	s_delay_alu instid0(VALU_DEP_1) | instskip(NEXT) | instid1(VALU_DEP_1)
	v_fmac_f32_e32 v6, v10, v18
	v_cvt_f64_f32_e32 v[6:7], v6
	s_delay_alu instid0(VALU_DEP_1) | instskip(NEXT) | instid1(VALU_DEP_1)
	v_mul_f64_e32 v[6:7], s[4:5], v[6:7]
	v_cvt_f32_f64_e32 v6, v[6:7]
	v_mul_f32_e32 v7, v11, v18
	s_delay_alu instid0(VALU_DEP_1) | instskip(NEXT) | instid1(VALU_DEP_1)
	v_fma_f32 v7, v10, v19, -v7
	v_cvt_f64_f32_e32 v[10:11], v7
	s_delay_alu instid0(VALU_DEP_1) | instskip(NEXT) | instid1(VALU_DEP_1)
	v_mul_f64_e32 v[10:11], s[4:5], v[10:11]
	v_cvt_f32_f64_e32 v7, v[10:11]
	v_mad_co_u64_u32 v[10:11], null, s0, v14, 0
	s_delay_alu instid0(VALU_DEP_1) | instskip(NEXT) | instid1(VALU_DEP_1)
	v_mad_co_u64_u32 v[14:15], null, s1, v14, v[11:12]
	v_mov_b32_e32 v11, v14
	s_delay_alu instid0(VALU_DEP_1) | instskip(NEXT) | instid1(VALU_DEP_1)
	v_lshlrev_b64_e32 v[10:11], 3, v[10:11]
	v_add_co_u32 v10, vcc_lo, v32, v10
	s_wait_alu 0xfffd
	s_delay_alu instid0(VALU_DEP_2) | instskip(SKIP_4) | instid1(VALU_DEP_1)
	v_add_co_ci_u32_e32 v11, vcc_lo, v33, v11, vcc_lo
	global_store_b64 v[10:11], v[6:7], off
	scratch_load_b64 v[10:11], off, off offset:8 th:TH_LOAD_LU ; 8-byte Folded Reload
	s_wait_loadcnt 0x0
	v_mul_f32_e32 v6, v11, v17
	v_fmac_f32_e32 v6, v10, v16
	s_delay_alu instid0(VALU_DEP_1) | instskip(NEXT) | instid1(VALU_DEP_1)
	v_cvt_f64_f32_e32 v[6:7], v6
	v_mul_f64_e32 v[6:7], s[4:5], v[6:7]
	s_delay_alu instid0(VALU_DEP_1) | instskip(SKIP_1) | instid1(VALU_DEP_1)
	v_cvt_f32_f64_e32 v6, v[6:7]
	v_mul_f32_e32 v7, v11, v16
	v_fma_f32 v7, v10, v17, -v7
	s_delay_alu instid0(VALU_DEP_1) | instskip(NEXT) | instid1(VALU_DEP_1)
	v_cvt_f64_f32_e32 v[10:11], v7
	v_mul_f64_e32 v[10:11], s[4:5], v[10:11]
	s_delay_alu instid0(VALU_DEP_1)
	v_cvt_f32_f64_e32 v7, v[10:11]
	scratch_load_b64 v[10:11], off, off th:TH_LOAD_LU ; 8-byte Folded Reload
	global_store_b64 v[2:3], v[6:7], off
	v_add_co_u32 v2, vcc_lo, v2, s2
	s_wait_alu 0xfffd
	v_add_co_ci_u32_e32 v3, vcc_lo, s3, v3, vcc_lo
	s_wait_loadcnt 0x0
	v_mul_f32_e32 v6, v11, v31
	s_delay_alu instid0(VALU_DEP_1) | instskip(NEXT) | instid1(VALU_DEP_1)
	v_fmac_f32_e32 v6, v10, v30
	v_cvt_f64_f32_e32 v[6:7], v6
	s_delay_alu instid0(VALU_DEP_1) | instskip(NEXT) | instid1(VALU_DEP_1)
	v_mul_f64_e32 v[6:7], s[4:5], v[6:7]
	v_cvt_f32_f64_e32 v6, v[6:7]
	v_mul_f32_e32 v7, v11, v30
	s_delay_alu instid0(VALU_DEP_1) | instskip(NEXT) | instid1(VALU_DEP_1)
	v_fma_f32 v7, v10, v31, -v7
	v_cvt_f64_f32_e32 v[10:11], v7
	s_delay_alu instid0(VALU_DEP_1) | instskip(NEXT) | instid1(VALU_DEP_1)
	v_mul_f64_e32 v[10:11], s[4:5], v[10:11]
	v_cvt_f32_f64_e32 v7, v[10:11]
	scratch_load_b64 v[10:11], off, off offset:80 th:TH_LOAD_LU ; 8-byte Folded Reload
	global_store_b64 v[2:3], v[6:7], off
	s_wait_loadcnt 0x0
	v_mul_f32_e32 v6, v11, v13
	s_delay_alu instid0(VALU_DEP_1) | instskip(NEXT) | instid1(VALU_DEP_1)
	v_fmac_f32_e32 v6, v10, v12
	v_cvt_f64_f32_e32 v[6:7], v6
	s_delay_alu instid0(VALU_DEP_1) | instskip(NEXT) | instid1(VALU_DEP_1)
	v_mul_f64_e32 v[6:7], s[4:5], v[6:7]
	v_cvt_f32_f64_e32 v6, v[6:7]
	v_mul_f32_e32 v7, v11, v12
	scratch_load_b32 v12, off, off offset:268 th:TH_LOAD_LU ; 4-byte Folded Reload
	v_fma_f32 v7, v10, v13, -v7
	s_delay_alu instid0(VALU_DEP_1) | instskip(NEXT) | instid1(VALU_DEP_1)
	v_cvt_f64_f32_e32 v[10:11], v7
	v_mul_f64_e32 v[10:11], s[4:5], v[10:11]
	s_delay_alu instid0(VALU_DEP_1) | instskip(SKIP_2) | instid1(VALU_DEP_1)
	v_cvt_f32_f64_e32 v7, v[10:11]
	s_wait_loadcnt 0x0
	v_mad_co_u64_u32 v[10:11], null, s0, v12, 0
	v_mad_co_u64_u32 v[11:12], null, s1, v12, v[11:12]
	s_delay_alu instid0(VALU_DEP_1) | instskip(NEXT) | instid1(VALU_DEP_1)
	v_lshlrev_b64_e32 v[10:11], 3, v[10:11]
	v_add_co_u32 v10, vcc_lo, v32, v10
	s_wait_alu 0xfffd
	s_delay_alu instid0(VALU_DEP_2)
	v_add_co_ci_u32_e32 v11, vcc_lo, v33, v11, vcc_lo
	v_add_co_u32 v2, vcc_lo, v2, s6
	s_wait_alu 0xfffd
	v_add_co_ci_u32_e32 v3, vcc_lo, s7, v3, vcc_lo
	global_store_b64 v[10:11], v[6:7], off
	scratch_load_b64 v[10:11], off, off offset:68 th:TH_LOAD_LU ; 8-byte Folded Reload
	s_wait_loadcnt 0x0
	v_mul_f32_e32 v6, v11, v29
	s_delay_alu instid0(VALU_DEP_1) | instskip(NEXT) | instid1(VALU_DEP_1)
	v_fmac_f32_e32 v6, v10, v28
	v_cvt_f64_f32_e32 v[6:7], v6
	s_delay_alu instid0(VALU_DEP_1) | instskip(NEXT) | instid1(VALU_DEP_1)
	v_mul_f64_e32 v[6:7], s[4:5], v[6:7]
	v_cvt_f32_f64_e32 v6, v[6:7]
	v_mul_f32_e32 v7, v11, v28
	s_delay_alu instid0(VALU_DEP_1) | instskip(NEXT) | instid1(VALU_DEP_1)
	v_fma_f32 v7, v10, v29, -v7
	v_cvt_f64_f32_e32 v[10:11], v7
	s_delay_alu instid0(VALU_DEP_1) | instskip(NEXT) | instid1(VALU_DEP_1)
	v_mul_f64_e32 v[10:11], s[4:5], v[10:11]
	v_cvt_f32_f64_e32 v7, v[10:11]
	scratch_load_b64 v[10:11], off, off offset:44 th:TH_LOAD_LU ; 8-byte Folded Reload
	global_store_b64 v[2:3], v[6:7], off
	v_add_co_u32 v2, vcc_lo, v2, s2
	s_wait_alu 0xfffd
	v_add_co_ci_u32_e32 v3, vcc_lo, s3, v3, vcc_lo
	s_wait_loadcnt 0x0
	v_mul_f32_e32 v6, v11, v9
	s_delay_alu instid0(VALU_DEP_1) | instskip(NEXT) | instid1(VALU_DEP_1)
	v_fmac_f32_e32 v6, v10, v8
	v_cvt_f64_f32_e32 v[6:7], v6
	s_delay_alu instid0(VALU_DEP_1) | instskip(NEXT) | instid1(VALU_DEP_1)
	v_mul_f64_e32 v[6:7], s[4:5], v[6:7]
	v_cvt_f32_f64_e32 v6, v[6:7]
	v_mul_f32_e32 v7, v11, v8
	s_delay_alu instid0(VALU_DEP_1) | instskip(NEXT) | instid1(VALU_DEP_1)
	v_fma_f32 v7, v10, v9, -v7
	v_cvt_f64_f32_e32 v[7:8], v7
	s_delay_alu instid0(VALU_DEP_1) | instskip(NEXT) | instid1(VALU_DEP_1)
	v_mul_f64_e32 v[7:8], s[4:5], v[7:8]
	v_cvt_f32_f64_e32 v7, v[7:8]
	global_store_b64 v[2:3], v[6:7], off
	scratch_load_b64 v[7:8], off, off offset:36 th:TH_LOAD_LU ; 8-byte Folded Reload
	v_add_co_u32 v2, vcc_lo, v2, s2
	s_wait_alu 0xfffd
	v_add_co_ci_u32_e32 v3, vcc_lo, s3, v3, vcc_lo
	s_wait_loadcnt 0x0
	v_mul_f32_e32 v6, v8, v27
	v_mov_b32_e32 v9, v8
	v_mov_b32_e32 v8, v7
	s_delay_alu instid0(VALU_DEP_3) | instskip(NEXT) | instid1(VALU_DEP_1)
	v_fmac_f32_e32 v6, v7, v26
	v_cvt_f64_f32_e32 v[6:7], v6
	s_delay_alu instid0(VALU_DEP_1) | instskip(NEXT) | instid1(VALU_DEP_1)
	v_mul_f64_e32 v[6:7], s[4:5], v[6:7]
	v_cvt_f32_f64_e32 v6, v[6:7]
	v_mul_f32_e32 v7, v9, v26
	s_delay_alu instid0(VALU_DEP_1) | instskip(NEXT) | instid1(VALU_DEP_1)
	v_fma_f32 v7, v8, v27, -v7
	v_cvt_f64_f32_e32 v[7:8], v7
	s_delay_alu instid0(VALU_DEP_1) | instskip(NEXT) | instid1(VALU_DEP_1)
	v_mul_f64_e32 v[7:8], s[4:5], v[7:8]
	v_cvt_f32_f64_e32 v7, v[7:8]
	global_store_b64 v[2:3], v[6:7], off
	scratch_load_b64 v[7:8], off, off offset:104 th:TH_LOAD_LU ; 8-byte Folded Reload
	s_wait_loadcnt 0x0
	v_mul_f32_e32 v6, v8, v5
	v_mov_b32_e32 v9, v8
	v_mov_b32_e32 v8, v7
	s_delay_alu instid0(VALU_DEP_3) | instskip(NEXT) | instid1(VALU_DEP_3)
	v_fmac_f32_e32 v6, v7, v4
	v_mul_f32_e32 v4, v9, v4
	s_delay_alu instid0(VALU_DEP_2) | instskip(NEXT) | instid1(VALU_DEP_2)
	v_cvt_f64_f32_e32 v[6:7], v6
	v_fma_f32 v4, v8, v5, -v4
	scratch_load_b32 v8, off, off offset:76 th:TH_LOAD_LU ; 4-byte Folded Reload
	v_cvt_f64_f32_e32 v[4:5], v4
	v_mul_f64_e32 v[6:7], s[4:5], v[6:7]
	s_delay_alu instid0(VALU_DEP_2) | instskip(NEXT) | instid1(VALU_DEP_2)
	v_mul_f64_e32 v[4:5], s[4:5], v[4:5]
	v_cvt_f32_f64_e32 v6, v[6:7]
	s_delay_alu instid0(VALU_DEP_2) | instskip(SKIP_2) | instid1(VALU_DEP_1)
	v_cvt_f32_f64_e32 v7, v[4:5]
	s_wait_loadcnt 0x0
	v_mad_co_u64_u32 v[4:5], null, s0, v8, 0
	v_mad_co_u64_u32 v[8:9], null, s1, v8, v[5:6]
	s_delay_alu instid0(VALU_DEP_1) | instskip(NEXT) | instid1(VALU_DEP_1)
	v_mov_b32_e32 v5, v8
	v_lshlrev_b64_e32 v[4:5], 3, v[4:5]
	s_delay_alu instid0(VALU_DEP_1) | instskip(SKIP_1) | instid1(VALU_DEP_2)
	v_add_co_u32 v4, vcc_lo, v32, v4
	s_wait_alu 0xfffd
	v_add_co_ci_u32_e32 v5, vcc_lo, v33, v5, vcc_lo
	v_add_co_u32 v2, vcc_lo, v2, s6
	s_wait_alu 0xfffd
	v_add_co_ci_u32_e32 v3, vcc_lo, s7, v3, vcc_lo
	global_store_b64 v[4:5], v[6:7], off
	scratch_load_b64 v[5:6], off, off offset:132 th:TH_LOAD_LU ; 8-byte Folded Reload
	s_wait_loadcnt 0x0
	v_mul_f32_e32 v4, v6, v25
	v_mov_b32_e32 v7, v6
	v_mov_b32_e32 v6, v5
	s_delay_alu instid0(VALU_DEP_3) | instskip(NEXT) | instid1(VALU_DEP_1)
	v_fmac_f32_e32 v4, v5, v24
	v_cvt_f64_f32_e32 v[4:5], v4
	s_delay_alu instid0(VALU_DEP_1) | instskip(NEXT) | instid1(VALU_DEP_1)
	v_mul_f64_e32 v[4:5], s[4:5], v[4:5]
	v_cvt_f32_f64_e32 v4, v[4:5]
	v_mul_f32_e32 v5, v7, v24
	s_delay_alu instid0(VALU_DEP_1) | instskip(NEXT) | instid1(VALU_DEP_1)
	v_fma_f32 v5, v6, v25, -v5
	v_cvt_f64_f32_e32 v[5:6], v5
	s_delay_alu instid0(VALU_DEP_1) | instskip(NEXT) | instid1(VALU_DEP_1)
	v_mul_f64_e32 v[5:6], s[4:5], v[5:6]
	v_cvt_f32_f64_e32 v5, v[5:6]
	global_store_b64 v[2:3], v[4:5], off
	scratch_load_b64 v[5:6], off, off offset:52 th:TH_LOAD_LU ; 8-byte Folded Reload
	s_wait_loadcnt 0x0
	v_mul_f32_e32 v4, v6, v1
	v_mov_b32_e32 v7, v6
	v_mov_b32_e32 v6, v5
	s_delay_alu instid0(VALU_DEP_3) | instskip(NEXT) | instid1(VALU_DEP_3)
	v_fmac_f32_e32 v4, v5, v0
	v_mul_f32_e32 v0, v7, v0
	s_delay_alu instid0(VALU_DEP_2) | instskip(NEXT) | instid1(VALU_DEP_2)
	v_cvt_f64_f32_e32 v[4:5], v4
	v_fma_f32 v0, v6, v1, -v0
	s_delay_alu instid0(VALU_DEP_1) | instskip(NEXT) | instid1(VALU_DEP_3)
	v_cvt_f64_f32_e32 v[0:1], v0
	v_mul_f64_e32 v[4:5], s[4:5], v[4:5]
	s_delay_alu instid0(VALU_DEP_2) | instskip(NEXT) | instid1(VALU_DEP_2)
	v_mul_f64_e32 v[0:1], s[4:5], v[0:1]
	v_cvt_f32_f64_e32 v4, v[4:5]
	s_delay_alu instid0(VALU_DEP_2)
	v_cvt_f32_f64_e32 v5, v[0:1]
	v_add_co_u32 v0, vcc_lo, v2, s2
	s_wait_alu 0xfffd
	v_add_co_ci_u32_e32 v1, vcc_lo, s3, v3, vcc_lo
	global_store_b64 v[0:1], v[4:5], off
	scratch_load_b64 v[3:4], off, off offset:60 th:TH_LOAD_LU ; 8-byte Folded Reload
	v_add_co_u32 v0, vcc_lo, v0, s2
	s_wait_alu 0xfffd
	v_add_co_ci_u32_e32 v1, vcc_lo, s3, v1, vcc_lo
	s_wait_loadcnt 0x0
	v_mul_f32_e32 v2, v4, v21
	v_mov_b32_e32 v5, v4
	v_mov_b32_e32 v4, v3
	s_delay_alu instid0(VALU_DEP_3) | instskip(NEXT) | instid1(VALU_DEP_1)
	v_fmac_f32_e32 v2, v3, v20
	v_cvt_f64_f32_e32 v[2:3], v2
	s_delay_alu instid0(VALU_DEP_1) | instskip(NEXT) | instid1(VALU_DEP_1)
	v_mul_f64_e32 v[2:3], s[4:5], v[2:3]
	v_cvt_f32_f64_e32 v2, v[2:3]
	v_mul_f32_e32 v3, v5, v20
	s_delay_alu instid0(VALU_DEP_1) | instskip(NEXT) | instid1(VALU_DEP_1)
	v_fma_f32 v3, v4, v21, -v3
	v_cvt_f64_f32_e32 v[3:4], v3
	s_delay_alu instid0(VALU_DEP_1) | instskip(NEXT) | instid1(VALU_DEP_1)
	v_mul_f64_e32 v[3:4], s[4:5], v[3:4]
	v_cvt_f32_f64_e32 v3, v[3:4]
	global_store_b64 v[0:1], v[2:3], off
.LBB0_2:
	s_nop 0
	s_sendmsg sendmsg(MSG_DEALLOC_VGPRS)
	s_endpgm
	.section	.rodata,"a",@progbits
	.p2align	6, 0x0
	.amdhsa_kernel bluestein_single_fwd_len2880_dim1_sp_op_CI_CI
		.amdhsa_group_segment_fixed_size 23040
		.amdhsa_private_segment_fixed_size 568
		.amdhsa_kernarg_size 104
		.amdhsa_user_sgpr_count 2
		.amdhsa_user_sgpr_dispatch_ptr 0
		.amdhsa_user_sgpr_queue_ptr 0
		.amdhsa_user_sgpr_kernarg_segment_ptr 1
		.amdhsa_user_sgpr_dispatch_id 0
		.amdhsa_user_sgpr_private_segment_size 0
		.amdhsa_wavefront_size32 1
		.amdhsa_uses_dynamic_stack 0
		.amdhsa_enable_private_segment 1
		.amdhsa_system_sgpr_workgroup_id_x 1
		.amdhsa_system_sgpr_workgroup_id_y 0
		.amdhsa_system_sgpr_workgroup_id_z 0
		.amdhsa_system_sgpr_workgroup_info 0
		.amdhsa_system_vgpr_workitem_id 0
		.amdhsa_next_free_vgpr 256
		.amdhsa_next_free_sgpr 17
		.amdhsa_reserve_vcc 1
		.amdhsa_float_round_mode_32 0
		.amdhsa_float_round_mode_16_64 0
		.amdhsa_float_denorm_mode_32 3
		.amdhsa_float_denorm_mode_16_64 3
		.amdhsa_fp16_overflow 0
		.amdhsa_workgroup_processor_mode 1
		.amdhsa_memory_ordered 1
		.amdhsa_forward_progress 0
		.amdhsa_round_robin_scheduling 0
		.amdhsa_exception_fp_ieee_invalid_op 0
		.amdhsa_exception_fp_denorm_src 0
		.amdhsa_exception_fp_ieee_div_zero 0
		.amdhsa_exception_fp_ieee_overflow 0
		.amdhsa_exception_fp_ieee_underflow 0
		.amdhsa_exception_fp_ieee_inexact 0
		.amdhsa_exception_int_div_zero 0
	.end_amdhsa_kernel
	.text
.Lfunc_end0:
	.size	bluestein_single_fwd_len2880_dim1_sp_op_CI_CI, .Lfunc_end0-bluestein_single_fwd_len2880_dim1_sp_op_CI_CI
                                        ; -- End function
	.section	.AMDGPU.csdata,"",@progbits
; Kernel info:
; codeLenInByte = 35488
; NumSgprs: 19
; NumVgprs: 256
; ScratchSize: 568
; MemoryBound: 0
; FloatMode: 240
; IeeeMode: 1
; LDSByteSize: 23040 bytes/workgroup (compile time only)
; SGPRBlocks: 2
; VGPRBlocks: 31
; NumSGPRsForWavesPerEU: 19
; NumVGPRsForWavesPerEU: 256
; Occupancy: 4
; WaveLimiterHint : 1
; COMPUTE_PGM_RSRC2:SCRATCH_EN: 1
; COMPUTE_PGM_RSRC2:USER_SGPR: 2
; COMPUTE_PGM_RSRC2:TRAP_HANDLER: 0
; COMPUTE_PGM_RSRC2:TGID_X_EN: 1
; COMPUTE_PGM_RSRC2:TGID_Y_EN: 0
; COMPUTE_PGM_RSRC2:TGID_Z_EN: 0
; COMPUTE_PGM_RSRC2:TIDIG_COMP_CNT: 0
	.text
	.p2alignl 7, 3214868480
	.fill 96, 4, 3214868480
	.type	__hip_cuid_b604b0a1b0e2d1b1,@object ; @__hip_cuid_b604b0a1b0e2d1b1
	.section	.bss,"aw",@nobits
	.globl	__hip_cuid_b604b0a1b0e2d1b1
__hip_cuid_b604b0a1b0e2d1b1:
	.byte	0                               ; 0x0
	.size	__hip_cuid_b604b0a1b0e2d1b1, 1

	.ident	"AMD clang version 19.0.0git (https://github.com/RadeonOpenCompute/llvm-project roc-6.4.0 25133 c7fe45cf4b819c5991fe208aaa96edf142730f1d)"
	.section	".note.GNU-stack","",@progbits
	.addrsig
	.addrsig_sym __hip_cuid_b604b0a1b0e2d1b1
	.amdgpu_metadata
---
amdhsa.kernels:
  - .args:
      - .actual_access:  read_only
        .address_space:  global
        .offset:         0
        .size:           8
        .value_kind:     global_buffer
      - .actual_access:  read_only
        .address_space:  global
        .offset:         8
        .size:           8
        .value_kind:     global_buffer
      - .actual_access:  read_only
        .address_space:  global
        .offset:         16
        .size:           8
        .value_kind:     global_buffer
      - .actual_access:  read_only
        .address_space:  global
        .offset:         24
        .size:           8
        .value_kind:     global_buffer
      - .actual_access:  read_only
        .address_space:  global
        .offset:         32
        .size:           8
        .value_kind:     global_buffer
      - .offset:         40
        .size:           8
        .value_kind:     by_value
      - .address_space:  global
        .offset:         48
        .size:           8
        .value_kind:     global_buffer
      - .address_space:  global
        .offset:         56
        .size:           8
        .value_kind:     global_buffer
      - .address_space:  global
        .offset:         64
        .size:           8
        .value_kind:     global_buffer
      - .address_space:  global
        .offset:         72
        .size:           8
        .value_kind:     global_buffer
      - .offset:         80
        .size:           4
        .value_kind:     by_value
      - .address_space:  global
        .offset:         88
        .size:           8
        .value_kind:     global_buffer
      - .address_space:  global
        .offset:         96
        .size:           8
        .value_kind:     global_buffer
    .group_segment_fixed_size: 23040
    .kernarg_segment_align: 8
    .kernarg_segment_size: 104
    .language:       OpenCL C
    .language_version:
      - 2
      - 0
    .max_flat_workgroup_size: 96
    .name:           bluestein_single_fwd_len2880_dim1_sp_op_CI_CI
    .private_segment_fixed_size: 568
    .sgpr_count:     19
    .sgpr_spill_count: 0
    .symbol:         bluestein_single_fwd_len2880_dim1_sp_op_CI_CI.kd
    .uniform_work_group_size: 1
    .uses_dynamic_stack: false
    .vgpr_count:     256
    .vgpr_spill_count: 141
    .wavefront_size: 32
    .workgroup_processor_mode: 1
amdhsa.target:   amdgcn-amd-amdhsa--gfx1201
amdhsa.version:
  - 1
  - 2
...

	.end_amdgpu_metadata
